;; amdgpu-corpus repo=ROCm/rocFFT kind=compiled arch=gfx950 opt=O3
	.text
	.amdgcn_target "amdgcn-amd-amdhsa--gfx950"
	.amdhsa_code_object_version 6
	.protected	bluestein_single_back_len208_dim1_sp_op_CI_CI ; -- Begin function bluestein_single_back_len208_dim1_sp_op_CI_CI
	.globl	bluestein_single_back_len208_dim1_sp_op_CI_CI
	.p2align	8
	.type	bluestein_single_back_len208_dim1_sp_op_CI_CI,@function
bluestein_single_back_len208_dim1_sp_op_CI_CI: ; @bluestein_single_back_len208_dim1_sp_op_CI_CI
; %bb.0:
	s_load_dwordx4 s[8:11], s[0:1], 0x28
	v_lshrrev_b32_e32 v1, 4, v0
	v_mov_b32_e32 v77, 0
	v_lshl_or_b32 v66, s2, 2, v1
	v_mov_b32_e32 v67, v77
	s_waitcnt lgkmcnt(0)
	v_cmp_gt_u64_e32 vcc, s[8:9], v[66:67]
	s_and_saveexec_b64 s[2:3], vcc
	s_cbranch_execz .LBB0_10
; %bb.1:
	s_load_dwordx4 s[4:7], s[0:1], 0x18
	s_load_dwordx2 s[12:13], s[0:1], 0x0
	v_and_b32_e32 v122, 15, v0
	v_mov_b32_e32 v2, s10
	v_mov_b32_e32 v3, s11
	s_waitcnt lgkmcnt(0)
	s_load_dwordx4 s[16:19], s[4:5], 0x0
	v_lshlrev_b32_e32 v76, 3, v122
	v_mul_u32_u24_e32 v92, 0xd0, v1
	v_lshl_or_b32 v67, v92, 3, v76
	s_mov_b32 s8, 0x3f62ad3f
	s_waitcnt lgkmcnt(0)
	v_mad_u64_u32 v[4:5], s[2:3], s18, v66, 0
	v_mad_u64_u32 v[6:7], s[2:3], s16, v122, 0
	v_mov_b32_e32 v0, v5
	v_mad_u64_u32 v[8:9], s[2:3], s19, v66, v[0:1]
	v_mov_b32_e32 v0, v7
	v_mov_b32_e32 v5, v8
	v_mad_u64_u32 v[8:9], s[2:3], s17, v122, v[0:1]
	v_mov_b32_e32 v7, v8
	v_lshl_add_u64 v[2:3], v[4:5], 3, v[2:3]
	v_lshl_add_u64 v[2:3], v[6:7], 3, v[2:3]
	s_lshl_b64 s[2:3], s[16:17], 7
	global_load_dwordx2 v[74:75], v76, s[12:13]
	global_load_dwordx2 v[4:5], v[2:3], off
	v_lshl_add_u64 v[2:3], v[2:3], 0, s[2:3]
	global_load_dwordx2 v[6:7], v[2:3], off
	global_load_dwordx2 v[72:73], v76, s[12:13] offset:128
	v_lshl_add_u64 v[2:3], v[2:3], 0, s[2:3]
	global_load_dwordx2 v[70:71], v76, s[12:13] offset:256
	global_load_dwordx2 v[8:9], v[2:3], off
	v_lshl_add_u64 v[2:3], v[2:3], 0, s[2:3]
	global_load_dwordx2 v[10:11], v[2:3], off
	global_load_dwordx2 v[68:69], v76, s[12:13] offset:384
	v_lshl_add_u64 v[2:3], v[2:3], 0, s[2:3]
	global_load_dwordx2 v[12:13], v[2:3], off
	global_load_dwordx2 v[64:65], v76, s[12:13] offset:512
	;; [unrolled: 3-line block ×4, first 2 shown]
	global_load_dwordx2 v[58:59], v76, s[12:13] offset:896
	v_lshl_add_u64 v[2:3], v[2:3], 0, s[2:3]
	global_load_dwordx2 v[18:19], v[2:3], off
	v_lshl_add_u64 v[2:3], v[2:3], 0, s[2:3]
	global_load_dwordx2 v[20:21], v[2:3], off
	global_load_dwordx2 v[56:57], v76, s[12:13] offset:1024
	v_lshl_add_u64 v[2:3], v[2:3], 0, s[2:3]
	global_load_dwordx2 v[22:23], v[2:3], off
	global_load_dwordx2 v[54:55], v76, s[12:13] offset:1152
	;; [unrolled: 3-line block ×3, first 2 shown]
	global_load_dwordx2 v[50:51], v76, s[12:13] offset:1408
	v_lshl_add_u64 v[2:3], v[2:3], 0, s[2:3]
	global_load_dwordx2 v[26:27], v[2:3], off
	global_load_dwordx2 v[48:49], v76, s[12:13] offset:1536
	v_lshl_add_u64 v[2:3], v[2:3], 0, s[2:3]
	global_load_dwordx2 v[2:3], v[2:3], off
	v_or_b32_e32 v0, v92, v122
	v_lshlrev_b32_e32 v123, 3, v0
	s_load_dwordx4 s[4:7], s[6:7], 0x0
	s_mov_b32 s2, 0xbeedf032
	s_mov_b32 s9, 0x3eedf032
	;; [unrolled: 1-line block ×17, first 2 shown]
	v_cmp_gt_u32_e32 vcc, 13, v122
	s_waitcnt vmcnt(24)
	v_mul_f32_e32 v0, v5, v75
	v_mul_f32_e32 v1, v4, v75
	v_fmac_f32_e32 v0, v4, v74
	v_fma_f32 v1, v5, v74, -v1
	s_waitcnt vmcnt(22)
	v_mul_f32_e32 v4, v7, v73
	v_mul_f32_e32 v5, v6, v73
	ds_write_b64 v123, v[0:1]
	s_waitcnt vmcnt(20)
	v_mul_f32_e32 v0, v9, v71
	v_mul_f32_e32 v1, v8, v71
	v_fmac_f32_e32 v4, v6, v72
	v_fma_f32 v5, v7, v72, -v5
	v_fmac_f32_e32 v0, v8, v70
	v_fma_f32 v1, v9, v70, -v1
	s_waitcnt vmcnt(18)
	v_mul_f32_e32 v6, v11, v69
	v_mul_f32_e32 v7, v10, v69
	ds_write2_b64 v67, v[4:5], v[0:1] offset0:16 offset1:32
	s_waitcnt vmcnt(16)
	v_mul_f32_e32 v0, v13, v65
	v_mul_f32_e32 v1, v12, v65
	v_fmac_f32_e32 v6, v10, v68
	v_fma_f32 v7, v11, v68, -v7
	v_fmac_f32_e32 v0, v12, v64
	v_fma_f32 v1, v13, v64, -v1
	s_waitcnt vmcnt(14)
	v_mul_f32_e32 v4, v15, v63
	v_mul_f32_e32 v5, v14, v63
	ds_write2_b64 v67, v[6:7], v[0:1] offset0:48 offset1:64
	;; [unrolled: 11-line block ×3, first 2 shown]
	s_waitcnt vmcnt(8)
	v_mul_f32_e32 v0, v21, v57
	v_mul_f32_e32 v1, v20, v57
	v_fmac_f32_e32 v6, v18, v58
	v_fma_f32 v7, v19, v58, -v7
	v_fmac_f32_e32 v0, v20, v56
	v_fma_f32 v1, v21, v56, -v1
	ds_write2_b64 v67, v[6:7], v[0:1] offset0:112 offset1:128
	s_waitcnt vmcnt(6)
	v_mul_f32_e32 v0, v22, v55
	v_mul_f32_e32 v4, v23, v55
	v_fma_f32 v5, v23, v54, -v0
	s_waitcnt vmcnt(4)
	v_mul_f32_e32 v0, v25, v53
	v_mul_f32_e32 v1, v24, v53
	v_fmac_f32_e32 v4, v22, v54
	v_fmac_f32_e32 v0, v24, v52
	v_fma_f32 v1, v25, v52, -v1
	ds_write2_b64 v67, v[4:5], v[0:1] offset0:144 offset1:160
	s_waitcnt vmcnt(0)
	v_mul_f32_e32 v4, v3, v49
	v_mul_f32_e32 v0, v27, v51
	;; [unrolled: 1-line block ×3, first 2 shown]
	v_fmac_f32_e32 v4, v2, v48
	v_mul_f32_e32 v2, v2, v49
	v_fmac_f32_e32 v0, v26, v50
	v_fma_f32 v1, v27, v50, -v1
	v_fma_f32 v5, v3, v48, -v2
	ds_write2_b64 v67, v[0:1], v[4:5] offset0:176 offset1:192
	s_waitcnt lgkmcnt(0)
	; wave barrier
	s_waitcnt lgkmcnt(0)
	ds_read_b64 v[0:1], v123
	ds_read2_b64 v[6:9], v67 offset0:16 offset1:32
	ds_read2_b64 v[14:17], v67 offset0:48 offset1:64
	;; [unrolled: 1-line block ×6, first 2 shown]
	s_waitcnt lgkmcnt(5)
	v_pk_add_f32 v[2:3], v[0:1], v[6:7]
	s_waitcnt lgkmcnt(0)
	v_pk_add_f32 v[2:3], v[2:3], v[8:9]
	; wave barrier
	s_nop 0
	v_pk_add_f32 v[2:3], v[2:3], v[14:15]
	v_pk_add_f32 v[4:5], v[6:7], v[12:13] neg_lo:[0,1] neg_hi:[0,1]
	v_pk_add_f32 v[2:3], v[2:3], v[16:17]
	v_mov_b32_e32 v35, v5
	v_pk_add_f32 v[2:3], v[2:3], v[22:23]
	s_nop 0
	v_pk_add_f32 v[2:3], v[2:3], v[24:25]
	s_nop 0
	;; [unrolled: 2-line block ×7, first 2 shown]
	v_pk_add_f32 v[78:79], v[2:3], v[12:13]
	v_pk_add_f32 v[2:3], v[12:13], v[6:7]
	v_pk_mul_f32 v[6:7], v[4:5], s[2:3] op_sel_hi:[1,0]
	s_mov_b32 s2, 0x3df6dbef
	s_mov_b32 s3, 0xbf7e222b
	v_pk_fma_f32 v[30:31], v[2:3], s[8:9], v[6:7] op_sel:[0,0,1] op_sel_hi:[1,0,0] neg_lo:[0,0,1] neg_hi:[0,0,1]
	v_pk_fma_f32 v[32:33], v[2:3], s[8:9], v[6:7] op_sel:[0,0,1] op_sel_hi:[1,0,0]
	v_pk_mul_f32 v[6:7], v[4:5], s[2:3]
	v_pk_add_f32 v[12:13], v[14:15], v[20:21] neg_lo:[0,1] neg_hi:[0,1]
	v_mov_b32_e32 v36, v7
	v_pk_add_f32 v[6:7], v[10:11], v[8:9]
	v_pk_add_f32 v[8:9], v[8:9], v[10:11] neg_lo:[0,1] neg_hi:[0,1]
	v_pk_add_f32 v[10:11], v[20:21], v[14:15]
	v_pk_add_f32 v[14:15], v[18:19], v[16:17]
	v_pk_add_f32 v[16:17], v[16:17], v[18:19] neg_lo:[0,1] neg_hi:[0,1]
	v_pk_add_f32 v[18:19], v[28:29], v[22:23]
	v_pk_add_f32 v[20:21], v[22:23], v[28:29] neg_lo:[0,1] neg_hi:[0,1]
	v_pk_add_f32 v[22:23], v[26:27], v[24:25]
	v_pk_add_f32 v[24:25], v[24:25], v[26:27] neg_lo:[0,1] neg_hi:[0,1]
	v_mov_b32_e32 v26, v4
	v_mov_b32_e32 v27, v3
	s_mov_b32 s10, s3
	s_mov_b32 s11, s2
	v_pk_mul_f32 v[38:39], v[26:27], s[10:11]
	v_mov_b32_e32 v34, v2
	v_mov_b32_e32 v28, v39
	v_pk_fma_f32 v[40:41], v[26:27], s[10:11], v[28:29]
	s_mov_b32 s10, 0x3f116cb1
	v_pk_mul_f32 v[42:43], v[8:9], s[24:25] op_sel_hi:[1,0]
	v_pk_fma_f32 v[26:27], v[34:35], s[2:3], v[36:37] neg_lo:[0,0,1] neg_hi:[0,0,1]
	v_pk_fma_f32 v[28:29], v[34:35], s[2:3], v[36:37]
	v_pk_add_f32 v[36:37], v[0:1], v[32:33]
	v_mov_b32_e32 v33, v31
	v_pk_fma_f32 v[82:83], v[6:7], s[10:11], v[42:43] op_sel:[0,0,1] op_sel_hi:[1,0,0] neg_lo:[0,0,1] neg_hi:[0,0,1]
	v_pk_fma_f32 v[34:35], v[6:7], s[10:11], v[42:43] op_sel:[0,0,1] op_sel_hi:[1,0,0]
	v_pk_add_f32 v[32:33], v[0:1], v[32:33]
	v_mov_b32_e32 v35, v83
	v_pk_add_f32 v[32:33], v[34:35], v[32:33]
	v_mov_b32_e32 v34, v7
	v_mov_b32_e32 v35, v8
	v_pk_mul_f32 v[84:85], v[34:35], s[14:15]
	v_mov_b32_e32 v35, v39
	v_mov_b32_e32 v34, v84
	;; [unrolled: 1-line block ×4, first 2 shown]
	v_pk_add_f32 v[34:35], v[34:35], v[38:39] neg_lo:[0,1] neg_hi:[0,1]
	v_pk_mul_f32 v[44:45], v[10:11], s[2:3] op_sel_hi:[1,0]
	v_pk_add_f32 v[38:39], v[0:1], v[34:35]
	v_mov_b32_e32 v31, v34
	v_pk_add_f32 v[34:35], v[30:31], v[38:39]
	v_pk_mul_f32 v[38:39], v[6:7], s[10:11] op_sel_hi:[1,0]
	s_mov_b32 s36, s3
	v_mov_b32_e32 v38, v45
	v_pk_mul_f32 v[44:45], v[12:13], s[36:37] op_sel_hi:[1,0]
	v_mov_b32_e32 v43, v42
	v_mov_b32_e32 v42, v44
	v_pk_add_f32 v[38:39], v[42:43], v[38:39]
	v_pk_fma_f32 v[86:87], v[10:11], s[2:3], v[44:45] op_sel:[0,0,1] op_sel_hi:[1,0,0] neg_lo:[0,0,1] neg_hi:[0,0,1]
	v_pk_add_f32 v[36:37], v[38:39], v[36:37]
	v_pk_add_f32 v[26:27], v[0:1], v[26:27]
	v_mov_b32_e32 v34, v37
	v_pk_fma_f32 v[36:37], v[10:11], s[2:3], v[44:45] op_sel:[0,0,1] op_sel_hi:[1,0,0]
	v_pk_add_f32 v[42:43], v[38:39], v[34:35]
	v_mov_b32_e32 v37, v87
	v_mov_b32_e32 v38, v13
	;; [unrolled: 1-line block ×3, first 2 shown]
	v_pk_add_f32 v[32:33], v[36:37], v[32:33]
	v_mov_b32_e32 v36, v10
	v_mov_b32_e32 v37, v6
	v_pk_mul_f32 v[38:39], v[38:39], s[18:19]
	s_mov_b32 s19, s16
	v_pk_fma_f32 v[44:45], v[36:37], s[16:17], v[38:39] neg_lo:[0,0,1] neg_hi:[0,0,1]
	v_pk_mul_f32 v[46:47], v[12:13], s[18:19]
	v_mov_b32_e32 v34, v45
	v_pk_add_f32 v[26:27], v[34:35], v[26:27]
	v_mov_b32_e32 v31, v46
	v_pk_add_f32 v[44:45], v[44:45], v[26:27]
	v_mov_b32_e32 v26, v12
	v_mov_b32_e32 v27, v11
	v_pk_fma_f32 v[88:89], v[26:27], s[18:19], v[30:31]
	v_pk_fma_f32 v[46:47], v[26:27], s[18:19], v[30:31] neg_lo:[0,0,1] neg_hi:[0,0,1]
	s_mov_b32 s18, 0xbf6f5d39
	v_pk_mul_f32 v[26:27], v[16:17], s[18:19] op_sel_hi:[1,0]
	v_mov_b32_e32 v99, v44
	v_pk_fma_f32 v[90:91], v[14:15], s[16:17], v[26:27] op_sel:[0,0,1] op_sel_hi:[1,0,0] neg_lo:[0,0,1] neg_hi:[0,0,1]
	v_pk_fma_f32 v[94:95], v[14:15], s[16:17], v[26:27] op_sel:[0,0,1] op_sel_hi:[1,0,0]
	v_mov_b32_e32 v27, v91
	v_mov_b32_e32 v26, v94
	v_pk_add_f32 v[26:27], v[26:27], v[32:33]
	v_pk_mul_f32 v[32:33], v[20:21], s[22:23] op_sel_hi:[1,0]
	v_mov_b32_e32 v44, v14
	v_pk_fma_f32 v[80:81], v[18:19], s[20:21], v[32:33] op_sel:[0,0,1] op_sel_hi:[1,0,0]
	v_pk_fma_f32 v[96:97], v[18:19], s[20:21], v[32:33] op_sel:[0,0,1] op_sel_hi:[1,0,0] neg_lo:[0,0,1] neg_hi:[0,0,1]
	v_mov_b32_e32 v45, v17
	v_mov_b32_e32 v81, v97
	v_pk_add_f32 v[26:27], v[80:81], v[26:27]
	v_pk_mul_f32 v[80:81], v[18:19], s[20:21] op_sel_hi:[1,0]
	v_mov_b32_e32 v41, v40
	v_mov_b32_e32 v98, v81
	v_pk_mul_f32 v[80:81], v[44:45], s[8:9]
	v_pk_add_f32 v[40:41], v[0:1], v[40:41]
	v_mov_b32_e32 v31, v80
	v_pk_fma_f32 v[100:101], v[44:45], s[8:9], v[30:31] neg_lo:[1,0,0] neg_hi:[1,0,0]
	v_mov_b32_e32 v31, v84
	v_mov_b32_e32 v84, v0
	v_pk_add_f32 v[30:31], v[84:85], v[30:31]
	v_mov_b32_e32 v83, v41
	v_pk_add_f32 v[30:31], v[82:83], v[30:31]
	v_mov_b32_e32 v87, v89
	v_mov_b32_e32 v84, v16
	;; [unrolled: 1-line block ×3, first 2 shown]
	v_pk_add_f32 v[30:31], v[86:87], v[30:31]
	v_pk_mul_f32 v[86:87], v[84:85], s[34:35]
	s_mov_b32 s11, s24
	v_mov_b32_e32 v41, v86
	v_pk_fma_f32 v[40:41], v[84:85], s[34:35], v[40:41]
	v_mov_b32_e32 v100, v32
	v_mov_b32_e32 v91, v41
	;; [unrolled: 1-line block ×5, first 2 shown]
	v_pk_mul_f32 v[88:89], v[40:41], s[10:11]
	v_pk_add_f32 v[42:43], v[32:33], v[42:43]
	v_mov_b32_e32 v32, v33
	v_mov_b32_e32 v33, v88
	v_pk_add_f32 v[98:99], v[100:101], v[98:99]
	v_mov_b32_e32 v100, v18
	v_mov_b32_e32 v101, v21
	v_pk_fma_f32 v[32:33], v[40:41], s[10:11], v[32:33]
	v_pk_mul_f32 v[102:103], v[100:101], s[10:11]
	v_pk_add_f32 v[30:31], v[90:91], v[30:31]
	v_mov_b32_e32 v97, v33
	v_pk_add_f32 v[32:33], v[96:97], v[30:31]
	v_mov_b32_e32 v31, v102
	v_mov_b32_e32 v94, v95
	;; [unrolled: 1-line block ×3, first 2 shown]
	v_pk_fma_f32 v[82:83], v[100:101], s[10:11], v[30:31]
	v_mov_b32_e32 v31, v88
	v_pk_fma_f32 v[94:95], v[100:101], s[10:11], v[94:95] neg_lo:[1,0,0] neg_hi:[1,0,0]
	v_pk_fma_f32 v[88:89], v[40:41], s[10:11], v[30:31] neg_lo:[1,0,0] neg_hi:[1,0,0]
	v_pk_mul_f32 v[30:31], v[4:5], s[24:25] op_sel_hi:[1,0]
	v_mov_b32_e32 v43, v95
	v_pk_fma_f32 v[40:41], v[2:3], s[10:11], v[30:31] op_sel:[0,0,1] op_sel_hi:[1,0,0] neg_lo:[0,0,1] neg_hi:[0,0,1]
	v_pk_fma_f32 v[90:91], v[2:3], s[10:11], v[30:31] op_sel:[0,0,1] op_sel_hi:[1,0,0]
	v_pk_mul_f32 v[94:95], v[8:9], s[18:19] op_sel_hi:[1,0]
	v_mov_b32_e32 v30, v40
	v_mov_b32_e32 v31, v91
	v_pk_fma_f32 v[96:97], v[6:7], s[16:17], v[94:95] op_sel:[0,0,1] op_sel_hi:[1,0,0] neg_lo:[0,0,1] neg_hi:[0,0,1]
	v_pk_fma_f32 v[94:95], v[6:7], s[16:17], v[94:95] op_sel:[0,0,1] op_sel_hi:[1,0,0]
	v_pk_add_f32 v[42:43], v[98:99], v[42:43]
	v_pk_add_f32 v[30:31], v[0:1], v[30:31]
	v_mov_b32_e32 v98, v96
	v_mov_b32_e32 v99, v95
	v_pk_add_f32 v[30:31], v[98:99], v[30:31]
	v_pk_mul_f32 v[98:99], v[12:13], s[28:29] op_sel_hi:[1,0]
	v_pk_mul_f32 v[120:121], v[4:5], s[18:19] op_sel_hi:[1,0]
	v_pk_fma_f32 v[100:101], v[10:11], s[14:15], v[98:99] op_sel:[0,0,1] op_sel_hi:[1,0,0] neg_lo:[0,0,1] neg_hi:[0,0,1]
	v_pk_fma_f32 v[98:99], v[10:11], s[14:15], v[98:99] op_sel:[0,0,1] op_sel_hi:[1,0,0]
	v_mov_b32_e32 v102, v100
	v_mov_b32_e32 v103, v99
	v_pk_add_f32 v[30:31], v[102:103], v[30:31]
	v_pk_mul_f32 v[102:103], v[16:17], s[38:39] op_sel_hi:[1,0]
	v_pk_fma_f32 v[124:125], v[2:3], s[16:17], v[120:121] op_sel:[0,0,1] op_sel_hi:[1,0,0] neg_lo:[0,0,1] neg_hi:[0,0,1]
	v_pk_fma_f32 v[104:105], v[14:15], s[20:21], v[102:103] op_sel:[0,0,1] op_sel_hi:[1,0,0] neg_lo:[0,0,1] neg_hi:[0,0,1]
	v_pk_fma_f32 v[102:103], v[14:15], s[20:21], v[102:103] op_sel:[0,0,1] op_sel_hi:[1,0,0]
	s_mov_b32 s21, s22
	v_pk_fma_f32 v[120:121], v[2:3], s[16:17], v[120:121] op_sel:[0,0,1] op_sel_hi:[1,0,0]
	v_pk_mul_f32 v[128:129], v[8:9], s[38:39] op_sel_hi:[1,0]
	v_mov_b32_e32 v126, v124
	v_mov_b32_e32 v127, v121
	v_pk_fma_f32 v[130:131], v[6:7], s[20:21], v[128:129] op_sel:[0,0,1] op_sel_hi:[1,0,0] neg_lo:[0,0,1] neg_hi:[0,0,1]
	v_pk_fma_f32 v[128:129], v[6:7], s[20:21], v[128:129] op_sel:[0,0,1] op_sel_hi:[1,0,0]
	v_pk_add_f32 v[126:127], v[0:1], v[126:127]
	v_mov_b32_e32 v132, v130
	v_mov_b32_e32 v133, v129
	v_pk_add_f32 v[126:127], v[132:133], v[126:127]
	v_pk_mul_f32 v[132:133], v[12:13], s[30:31] op_sel_hi:[1,0]
	s_mov_b32 s38, 0x3e750f2a
	v_pk_fma_f32 v[134:135], v[10:11], s[8:9], v[132:133] op_sel:[0,0,1] op_sel_hi:[1,0,0] neg_lo:[0,0,1] neg_hi:[0,0,1]
	v_pk_fma_f32 v[132:133], v[10:11], s[8:9], v[132:133] op_sel:[0,0,1] op_sel_hi:[1,0,0]
	v_mov_b32_e32 v136, v134
	v_mov_b32_e32 v137, v133
	v_pk_add_f32 v[126:127], v[136:137], v[126:127]
	v_pk_mul_f32 v[136:137], v[16:17], s[36:37] op_sel_hi:[1,0]
	v_mov_b32_e32 v121, v41
	v_pk_fma_f32 v[138:139], v[14:15], s[2:3], v[136:137] op_sel:[0,0,1] op_sel_hi:[1,0,0] neg_lo:[0,0,1] neg_hi:[0,0,1]
	v_pk_fma_f32 v[136:137], v[14:15], s[2:3], v[136:137] op_sel:[0,0,1] op_sel_hi:[1,0,0]
	v_mov_b32_e32 v140, v138
	v_mov_b32_e32 v141, v137
	;; [unrolled: 1-line block ×4, first 2 shown]
	v_pk_add_f32 v[126:127], v[140:141], v[126:127]
	v_pk_mul_f32 v[140:141], v[20:21], s[38:39] op_sel_hi:[1,0]
	v_mov_b32_e32 v129, v97
	v_pk_add_f32 v[40:41], v[0:1], v[120:121]
	v_pk_mul_f32 v[96:97], v[24:25], s[28:29] op_sel_hi:[1,0]
	v_pk_add_f32 v[30:31], v[106:107], v[30:31]
	v_pk_mul_f32 v[106:107], v[20:21], s[26:27] op_sel_hi:[1,0]
	v_pk_fma_f32 v[142:143], v[18:19], s[14:15], v[140:141] op_sel:[0,0,1] op_sel_hi:[1,0,0] neg_lo:[0,0,1] neg_hi:[0,0,1]
	v_pk_fma_f32 v[144:145], v[18:19], s[14:15], v[140:141] op_sel:[0,0,1] op_sel_hi:[1,0,0]
	v_pk_add_f32 v[40:41], v[128:129], v[40:41]
	v_mov_b32_e32 v133, v101
	v_mov_b32_e32 v137, v105
	v_pk_fma_f32 v[100:101], v[22:23], s[14:15], v[96:97] op_sel:[0,0,1] op_sel_hi:[1,0,0] neg_lo:[0,0,1] neg_hi:[0,0,1]
	v_pk_fma_f32 v[96:97], v[22:23], s[14:15], v[96:97] op_sel:[0,0,1] op_sel_hi:[1,0,0]
	v_pk_mul_f32 v[104:105], v[18:19], s[14:15] op_sel_hi:[1,0]
	s_mov_b32 s15, s2
	v_pk_fma_f32 v[108:109], v[18:19], s[2:3], v[106:107] op_sel:[0,0,1] op_sel_hi:[1,0,0] neg_lo:[0,0,1] neg_hi:[0,0,1]
	v_pk_fma_f32 v[110:111], v[18:19], s[2:3], v[106:107] op_sel:[0,0,1] op_sel_hi:[1,0,0]
	v_pk_add_f32 v[40:41], v[132:133], v[40:41]
	v_pk_fma_f32 v[120:121], v[18:19], s[14:15], v[140:141] op_sel:[0,0,1] op_sel_hi:[1,1,0]
	v_pk_fma_f32 v[106:107], v[18:19], s[14:15], v[106:107] op_sel:[0,0,1] op_sel_hi:[1,1,0] neg_lo:[0,0,1] neg_hi:[0,0,1]
	v_pk_add_f32 v[40:41], v[136:137], v[40:41]
	v_mov_b32_e32 v121, v107
	v_mov_b32_e32 v91, v125
	v_pk_add_f32 v[106:107], v[120:121], v[40:41]
	v_mov_b32_e32 v95, v131
	v_pk_add_f32 v[40:41], v[0:1], v[90:91]
	;; [unrolled: 2-line block ×3, first 2 shown]
	v_pk_mul_f32 v[94:95], v[18:19], s[2:3] op_sel_hi:[1,0]
	v_mov_b32_e32 v90, v105
	v_mov_b32_e32 v91, v94
	s_mov_b32 s39, s26
	v_pk_add_f32 v[40:41], v[98:99], v[40:41]
	v_mov_b32_e32 v103, v139
	v_pk_fma_f32 v[94:95], v[20:21], s[38:39], v[90:91] neg_lo:[1,0,0] neg_hi:[1,0,0]
	v_pk_fma_f32 v[90:91], v[20:21], s[38:39], v[90:91]
	v_pk_add_f32 v[40:41], v[102:103], v[40:41]
	v_mov_b32_e32 v95, v91
	s_mov_b32 s36, 0x3f52af12
	v_pk_add_f32 v[90:91], v[94:95], v[40:41] op_sel:[0,1] op_sel_hi:[1,0]
	v_pk_mul_f32 v[40:41], v[24:25], s[36:37] op_sel_hi:[1,0]
	v_mov_b32_e32 v143, v145
	v_pk_fma_f32 v[94:95], v[22:23], s[10:11], v[40:41] op_sel:[0,0,1] op_sel_hi:[1,0,0] neg_lo:[0,0,1] neg_hi:[0,0,1]
	v_pk_fma_f32 v[98:99], v[22:23], s[10:11], v[40:41] op_sel:[0,0,1] op_sel_hi:[1,0,0]
	v_pk_mul_f32 v[102:103], v[4:5], s[22:23] op_sel_hi:[1,0]
	v_pk_add_f32 v[126:127], v[142:143], v[126:127]
	v_mov_b32_e32 v40, v94
	v_mov_b32_e32 v41, v99
	v_pk_fma_f32 v[104:105], v[2:3], s[20:21], v[102:103] op_sel:[0,0,1] op_sel_hi:[1,0,0] neg_lo:[0,0,1] neg_hi:[0,0,1]
	v_pk_fma_f32 v[120:121], v[2:3], s[20:21], v[102:103] op_sel:[0,0,1] op_sel_hi:[1,0,0]
	v_pk_mul_f32 v[124:125], v[8:9], s[26:27] op_sel_hi:[1,0]
	v_pk_add_f32 v[40:41], v[40:41], v[126:127]
	v_mov_b32_e32 v120, v104
	v_pk_fma_f32 v[126:127], v[6:7], s[2:3], v[124:125] op_sel:[0,0,1] op_sel_hi:[1,0,0] neg_lo:[0,0,1] neg_hi:[0,0,1]
	v_pk_fma_f32 v[128:129], v[6:7], s[2:3], v[124:125] op_sel:[0,0,1] op_sel_hi:[1,0,0]
	v_pk_add_f32 v[120:121], v[0:1], v[120:121]
	v_mov_b32_e32 v128, v126
	v_pk_add_f32 v[120:121], v[128:129], v[120:121]
	v_pk_mul_f32 v[128:129], v[2:3], s[20:21] op_sel_hi:[1,0]
	v_pk_mul_f32 v[130:131], v[6:7], s[2:3] op_sel_hi:[1,0]
	v_mov_b32_e32 v102, v125
	v_mov_b32_e32 v131, v128
	v_pk_add_f32 v[102:103], v[130:131], v[102:103]
	v_mov_b32_e32 v87, v86
	v_mov_b32_e32 v34, v103
	v_pk_add_f32 v[124:125], v[0:1], v[34:35]
	v_pk_add_f32 v[28:29], v[0:1], v[28:29]
	;; [unrolled: 1-line block ×3, first 2 shown]
	v_pk_mul_f32 v[124:125], v[12:13], s[24:25] op_sel_hi:[1,0]
	v_mov_b32_e32 v86, v102
	v_pk_fma_f32 v[128:129], v[10:11], s[10:11], v[124:125] op_sel:[0,0,1] op_sel_hi:[1,0,0] neg_lo:[0,0,1] neg_hi:[0,0,1]
	v_pk_fma_f32 v[124:125], v[10:11], s[10:11], v[124:125] op_sel:[0,0,1] op_sel_hi:[1,0,0]
	v_mov_b32_e32 v130, v128
	v_mov_b32_e32 v131, v125
	v_pk_add_f32 v[102:103], v[124:125], v[102:103]
	v_pk_fma_f32 v[84:85], v[84:85], s[34:35], v[86:87] neg_lo:[0,0,1] neg_hi:[0,0,1]
	v_pk_add_f32 v[120:121], v[130:131], v[120:121]
	v_pk_mul_f32 v[130:131], v[16:17], s[38:39] op_sel_hi:[1,0]
	v_mov_b32_e32 v103, v85
	v_pk_mul_f32 v[84:85], v[14:15], s[14:15] op_sel_hi:[1,0]
	v_mov_b32_e32 v34, v131
	v_mov_b32_e32 v46, v84
	v_pk_add_f32 v[34:35], v[46:47], v[34:35]
	v_pk_fma_f32 v[46:47], v[36:37], s[16:17], v[38:39]
	v_pk_mul_f32 v[36:37], v[36:37], s[16:17]
	v_mov_b32_e32 v38, v105
	v_mov_b32_e32 v36, v1
	v_pk_add_f32 v[36:37], v[36:37], v[38:39]
	v_mov_b32_e32 v38, v127
	v_mov_b32_e32 v39, v28
	v_pk_add_f32 v[28:29], v[38:39], v[36:37]
	;; [unrolled: 3-line block ×3, first 2 shown]
	v_mov_b32_e32 v37, v80
	v_mov_b32_e32 v36, v85
	;; [unrolled: 1-line block ×3, first 2 shown]
	v_pk_fma_f32 v[36:37], v[44:45], s[8:9], v[36:37]
	v_pk_add_f32 v[30:31], v[108:109], v[30:31]
	v_pk_mul_f32 v[108:109], v[24:25], s[30:31] op_sel_hi:[1,0]
	v_mov_b32_e32 v36, v85
	v_pk_fma_f32 v[110:111], v[22:23], s[8:9], v[108:109] op_sel:[0,0,1] op_sel_hi:[1,0,0] neg_lo:[0,0,1] neg_hi:[0,0,1]
	v_pk_fma_f32 v[108:109], v[22:23], s[8:9], v[108:109] op_sel:[0,0,1] op_sel_hi:[1,0,0]
	v_pk_fma_f32 v[38:39], v[16:17], s[38:39], v[36:37] op_sel_hi:[1,0,1] neg_lo:[1,0,0] neg_hi:[1,0,0]
	v_mov_b32_e32 v112, v110
	v_mov_b32_e32 v113, v109
	v_pk_mul_f32 v[114:115], v[22:23], s[20:21]
	v_mov_b32_e32 v39, v37
	v_pk_mul_f32 v[36:37], v[20:21], s[30:31] op_sel_hi:[1,0]
	v_pk_add_f32 v[30:31], v[112:113], v[30:31]
	v_mov_b32_e32 v112, v22
	v_mov_b32_e32 v113, v25
	;; [unrolled: 1-line block ×5, first 2 shown]
	v_pk_add_f32 v[28:29], v[38:39], v[28:29]
	v_pk_fma_f32 v[38:39], v[18:19], s[8:9], v[36:37] op_sel:[0,0,1] op_sel_hi:[1,0,0] neg_lo:[0,0,1] neg_hi:[0,0,1]
	v_pk_mul_f32 v[46:47], v[24:25], s[18:19] op_sel_hi:[1,0]
	v_pk_fma_f32 v[114:115], v[112:113], s[20:21], v[80:81] neg_lo:[1,0,0] neg_hi:[1,0,0]
	v_pk_fma_f32 v[112:113], v[112:113], s[20:21], v[80:81]
	v_pk_mul_f32 v[118:119], v[116:117], s[20:21]
	v_pk_fma_f32 v[132:133], v[14:15], s[14:15], v[130:131] op_sel:[0,0,1] op_sel_hi:[1,0,0] neg_lo:[0,0,1] neg_hi:[0,0,1]
	v_pk_fma_f32 v[134:135], v[14:15], s[14:15], v[130:131] op_sel:[0,0,1] op_sel_hi:[1,0,0]
	v_pk_fma_f32 v[84:85], v[22:23], s[16:17], v[46:47] op_sel:[0,0,1] op_sel_hi:[1,0,0] neg_lo:[0,0,1] neg_hi:[0,0,1]
	v_mov_b32_e32 v82, v39
	v_mov_b32_e32 v81, v118
	;; [unrolled: 1-line block ×3, first 2 shown]
	v_pk_fma_f32 v[36:37], v[18:19], s[8:9], v[36:37] op_sel:[0,0,1] op_sel_hi:[1,0,0]
	v_pk_add_f32 v[28:29], v[82:83], v[28:29]
	v_mov_b32_e32 v112, v85
	v_pk_mul_f32 v[4:5], v[4:5], s[28:29] op_sel_hi:[1,0]
	v_pk_fma_f32 v[118:119], v[116:117], s[20:21], v[80:81]
	v_pk_fma_f32 v[116:117], v[116:117], s[20:21], v[80:81] neg_lo:[1,0,0] neg_hi:[1,0,0]
	v_pk_add_f32 v[120:121], v[132:133], v[120:121]
	v_pk_add_f32 v[34:35], v[34:35], v[102:103]
	v_mov_b32_e32 v44, v38
	v_mov_b32_e32 v45, v37
	v_pk_fma_f32 v[46:47], v[22:23], s[16:17], v[46:47] op_sel:[0,0,1] op_sel_hi:[1,0,0]
	v_mov_b32_e32 v80, v84
	v_mov_b32_e32 v37, v89
	v_pk_add_f32 v[84:85], v[112:113], v[28:29]
	v_pk_fma_f32 v[28:29], v[2:3], s[14:15], v[4:5] op_sel:[0,0,1] op_sel_hi:[1,0,0]
	v_pk_fma_f32 v[2:3], v[2:3], s[14:15], v[4:5] op_sel:[0,0,1] op_sel_hi:[1,0,0] neg_lo:[0,0,1] neg_hi:[0,0,1]
	v_pk_mul_f32 v[4:5], v[8:9], s[30:31] op_sel_hi:[1,0]
	v_pk_add_f32 v[44:45], v[44:45], v[120:121]
	v_mov_b32_e32 v81, v47
	v_pk_add_f32 v[34:35], v[36:37], v[34:35]
	v_mov_b32_e32 v36, v95
	v_mov_b32_e32 v37, v108
	v_pk_fma_f32 v[8:9], v[6:7], s[8:9], v[4:5] op_sel:[0,0,1] op_sel_hi:[1,0,0]
	v_pk_fma_f32 v[4:5], v[6:7], s[8:9], v[4:5] op_sel:[0,0,1] op_sel_hi:[1,0,0] neg_lo:[0,0,1] neg_hi:[0,0,1]
	v_mov_b32_e32 v6, v28
	v_mov_b32_e32 v7, v3
	v_pk_add_f32 v[86:87], v[80:81], v[44:45]
	v_pk_add_f32 v[80:81], v[36:37], v[90:91]
	;; [unrolled: 1-line block ×3, first 2 shown]
	v_mov_b32_e32 v36, v8
	v_mov_b32_e32 v37, v5
	v_pk_mul_f32 v[12:13], v[12:13], s[22:23] op_sel_hi:[1,0]
	v_pk_add_f32 v[6:7], v[36:37], v[6:7]
	v_pk_fma_f32 v[36:37], v[10:11], s[20:21], v[12:13] op_sel:[0,0,1] op_sel_hi:[1,0,0]
	v_pk_fma_f32 v[10:11], v[10:11], s[20:21], v[12:13] op_sel:[0,0,1] op_sel_hi:[1,0,0] neg_lo:[0,0,1] neg_hi:[0,0,1]
	v_mov_b32_e32 v12, v36
	v_mov_b32_e32 v13, v11
	v_pk_add_f32 v[6:7], v[12:13], v[6:7]
	v_pk_mul_f32 v[12:13], v[16:17], s[36:37] op_sel_hi:[1,0]
	v_mov_b32_e32 v3, v29
	v_pk_fma_f32 v[16:17], v[14:15], s[10:11], v[12:13] op_sel:[0,0,1] op_sel_hi:[1,0,0]
	v_pk_fma_f32 v[12:13], v[14:15], s[10:11], v[12:13] op_sel:[0,0,1] op_sel_hi:[1,0,0] neg_lo:[0,0,1] neg_hi:[0,0,1]
	v_mov_b32_e32 v14, v16
	v_mov_b32_e32 v15, v13
	v_pk_add_f32 v[0:1], v[0:1], v[2:3]
	v_mov_b32_e32 v5, v9
	v_pk_add_f32 v[6:7], v[14:15], v[6:7]
	v_pk_mul_f32 v[14:15], v[20:21], s[18:19] op_sel_hi:[1,0]
	v_pk_add_f32 v[0:1], v[4:5], v[0:1]
	v_mov_b32_e32 v11, v37
	v_pk_fma_f32 v[20:21], v[18:19], s[16:17], v[14:15] op_sel:[0,0,1] op_sel_hi:[1,0,0]
	v_pk_fma_f32 v[14:15], v[18:19], s[16:17], v[14:15] op_sel:[0,0,1] op_sel_hi:[1,0,0] neg_lo:[0,0,1] neg_hi:[0,0,1]
	v_pk_add_f32 v[0:1], v[10:11], v[0:1]
	v_mov_b32_e32 v13, v17
	v_pk_mul_f32 v[2:3], v[24:25], s[26:27] op_sel_hi:[1,0]
	v_mov_b32_e32 v19, v15
	v_pk_add_f32 v[0:1], v[12:13], v[0:1]
	v_mov_b32_e32 v15, v21
	v_pk_fma_f32 v[4:5], v[22:23], s[2:3], v[2:3] op_sel:[0,0,1] op_sel_hi:[1,0,0] neg_lo:[0,0,1] neg_hi:[0,0,1]
	v_pk_fma_f32 v[2:3], v[22:23], s[2:3], v[2:3] op_sel:[0,0,1] op_sel_hi:[1,0,0]
	v_mov_b32_e32 v114, v97
	v_mov_b32_e32 v97, v101
	;; [unrolled: 1-line block ×3, first 2 shown]
	v_pk_add_f32 v[0:1], v[14:15], v[0:1]
	v_mov_b32_e32 v8, v4
	v_mov_b32_e32 v9, v3
	v_pk_add_f32 v[82:83], v[114:115], v[42:43]
	s_load_dwordx2 s[8:9], s[0:1], 0x38
	v_pk_add_f32 v[32:33], v[100:101], v[32:33]
	v_pk_add_f32 v[88:89], v[8:9], v[0:1]
	v_mul_u32_u24_e32 v0, 13, v122
	v_mov_b32_e32 v99, v111
	v_mov_b32_e32 v47, v117
	;; [unrolled: 1-line block ×3, first 2 shown]
	v_add_lshl_u32 v124, v92, v0, 3
	v_mov_b32_e32 v0, v32
	v_mov_b32_e32 v1, v82
	v_pk_add_f32 v[6:7], v[18:19], v[6:7]
	v_pk_add_f32 v[28:29], v[98:99], v[106:107]
	v_pk_add_f32 v[38:39], v[46:47], v[34:35]
	v_mov_b32_e32 v3, v5
	ds_write2_b64 v124, v[78:79], v[0:1] offset1:1
	v_mov_b32_e32 v0, v83
	v_mov_b32_e32 v1, v33
	v_pk_add_f32 v[90:91], v[2:3], v[6:7]
	ds_write2_b64 v124, v[30:31], v[0:1] offset0:2 offset1:3
	ds_write2_b64 v124, v[40:41], v[86:87] offset0:4 offset1:5
	;; [unrolled: 1-line block ×3, first 2 shown]
	v_mov_b32_e32 v0, v38
	v_mov_b32_e32 v1, v84
	;; [unrolled: 1-line block ×4, first 2 shown]
	v_pk_add_f32 v[42:43], v[96:97], v[26:27]
	ds_write2_b64 v124, v[0:1], v[2:3] offset0:8 offset1:9
	v_mov_b32_e32 v0, v85
	v_mov_b32_e32 v1, v39
	;; [unrolled: 1-line block ×4, first 2 shown]
	v_cmp_lt_u32_e64 s[2:3], 12, v122
	ds_write2_b64 v124, v[0:1], v[2:3] offset0:10 offset1:11
	ds_write_b64 v124, v[42:43] offset:96
	s_waitcnt lgkmcnt(0)
	; wave barrier
	s_waitcnt lgkmcnt(0)
	s_and_saveexec_b64 s[10:11], s[2:3]
	s_xor_b64 s[10:11], exec, s[10:11]
	s_or_saveexec_b64 s[10:11], s[10:11]
	s_load_dwordx2 s[0:1], s[0:1], 0x8
                                        ; implicit-def: $vgpr92
                                        ; implicit-def: $vgpr46
	s_xor_b64 exec, exec, s[10:11]
	s_cbranch_execz .LBB0_3
; %bb.2:
	ds_read2_b64 v[32:35], v67 offset0:13 offset1:26
	ds_read2_b64 v[0:3], v67 offset0:39 offset1:52
	;; [unrolled: 1-line block ×7, first 2 shown]
	ds_read_b64 v[78:79], v123
	ds_read_b64 v[92:93], v67 offset:1560
	s_waitcnt lgkmcnt(0)
	v_mov_b32_e32 v84, v39
	v_mov_b32_e32 v85, v30
	;; [unrolled: 1-line block ×9, first 2 shown]
	v_mov_b64_e32 v[90:91], v[36:37]
	v_mov_b64_e32 v[88:89], v[6:7]
	;; [unrolled: 1-line block ×5, first 2 shown]
.LBB0_3:
	s_or_b64 exec, exec, s[10:11]
	v_add_u32_e32 v0, -13, v122
	v_cndmask_b32_e32 v0, v0, v122, vcc
	v_mul_hi_i32_i24_e32 v1, 0x78, v0
	v_mul_i32_i24_e32 v0, 0x78, v0
	s_waitcnt lgkmcnt(0)
	v_lshl_add_u64 v[34:35], s[0:1], 0, v[0:1]
	global_load_dwordx4 v[0:3], v[34:35], off
	global_load_dwordx4 v[8:11], v[34:35], off offset:16
	global_load_dwordx4 v[4:7], v[34:35], off offset:32
	;; [unrolled: 1-line block ×6, first 2 shown]
	global_load_dwordx2 v[36:37], v[34:35], off offset:112
	v_mov_b32_e32 v108, v29
	v_lshl_add_u64 v[34:35], s[12:13], 0, v[76:77]
	v_mov_b32_e32 v94, v31
	v_mov_b32_e32 v100, v87
	;; [unrolled: 1-line block ×9, first 2 shown]
	s_mov_b32 s0, 0x3f3504f3
	s_mov_b32 s10, 0x3ec3ef15
	;; [unrolled: 1-line block ×7, first 2 shown]
	s_waitcnt vmcnt(7)
	v_pk_mul_f32 v[116:117], v[30:31], v[2:3]
	s_waitcnt vmcnt(6)
	v_pk_mul_f32 v[120:121], v[40:41], v[10:11]
	;; [unrolled: 2-line block ×3, first 2 shown]
	v_mov_b32_e32 v116, v3
	v_mov_b32_e32 v120, v5
	;; [unrolled: 1-line block ×3, first 2 shown]
	s_waitcnt vmcnt(3)
	v_pk_mul_f32 v[134:135], v[84:85], v[18:19]
	s_waitcnt vmcnt(2)
	v_pk_mul_f32 v[108:109], v[108:109], v[24:25]
	v_pk_mul_f32 v[136:137], v[42:43], v[26:27]
	s_waitcnt vmcnt(1)
	v_pk_mul_f32 v[138:139], v[44:45], v[20:21]
	v_pk_mul_f32 v[118:119], v[82:83], v[8:9]
	;; [unrolled: 1-line block ×4, first 2 shown]
	v_mov_b32_e32 v134, v27
	v_mov_b32_e32 v136, v21
	v_pk_mul_f32 v[140:141], v[46:47], v[22:23]
	v_mov_b32_e32 v138, v117
	v_pk_mul_f32 v[116:117], v[30:31], v[116:117]
	v_mov_b32_e32 v142, v121
	v_mov_b32_e32 v144, v127
	v_pk_mul_f32 v[120:121], v[86:87], v[120:121]
	v_pk_mul_f32 v[126:127], v[88:89], v[126:127]
	v_mov_b32_e32 v77, v108
	v_mov_b32_e32 v118, v11
	;; [unrolled: 1-line block ×6, first 2 shown]
	v_pk_mul_f32 v[134:135], v[42:43], v[134:135]
	v_pk_mul_f32 v[136:137], v[44:45], v[136:137]
	v_mov_b32_e32 v154, v141
	v_pk_fma_f32 v[94:95], v[94:95], v[2:3], v[116:117]
	v_pk_fma_f32 v[100:101], v[100:101], v[4:5], v[120:121]
	;; [unrolled: 1-line block ×4, first 2 shown]
	v_mov_b32_e32 v126, v23
	v_mov_b32_e32 v140, v119
	v_pk_mul_f32 v[118:119], v[40:41], v[118:119]
	v_mov_b32_e32 v146, v129
	v_mov_b32_e32 v148, v131
	v_pk_mul_f32 v[128:129], v[90:91], v[128:129]
	v_pk_mul_f32 v[130:131], v[84:85], v[130:131]
	v_pk_fma_f32 v[42:43], v[42:43], v[26:27], v[108:109] neg_lo:[0,0,1] neg_hi:[0,0,1]
	v_pk_fma_f32 v[108:109], v[110:111], v[26:27], v[134:135]
	v_pk_fma_f32 v[110:111], v[112:113], v[20:21], v[136:137] op_sel_hi:[0,1,1]
	v_pk_fma_f32 v[112:113], v[46:47], v[22:23], v[154:155] neg_lo:[0,0,1] neg_hi:[0,0,1]
	v_mov_b32_e32 v120, v47
	v_pk_mul_f32 v[46:47], v[46:47], v[126:127]
	s_waitcnt vmcnt(0)
	v_pk_mul_f32 v[126:127], v[92:93], v[36:37]
	v_mov_b32_e32 v152, v139
	v_pk_fma_f32 v[40:41], v[40:41], v[10:11], v[142:143] neg_lo:[0,0,1] neg_hi:[0,0,1]
	v_pk_fma_f32 v[98:99], v[98:99], v[10:11], v[118:119]
	v_pk_fma_f32 v[88:89], v[88:89], v[6:7], v[146:147] neg_lo:[0,0,1] neg_hi:[0,0,1]
	v_pk_fma_f32 v[102:103], v[104:105], v[12:13], v[128:129]
	v_pk_fma_f32 v[104:105], v[38:39], v[14:15], v[130:131] neg_lo:[0,0,1] neg_hi:[0,0,1]
	v_pk_fma_f32 v[46:47], v[120:121], v[22:23], v[46:47]
	v_mov_b32_e32 v120, v127
	v_pk_fma_f32 v[30:31], v[30:31], v[2:3], v[138:139] neg_lo:[0,0,1] neg_hi:[0,0,1]
	v_pk_fma_f32 v[86:87], v[86:87], v[4:5], v[144:145] neg_lo:[0,0,1] neg_hi:[0,0,1]
	;; [unrolled: 1-line block ×5, first 2 shown]
	v_pk_add_f32 v[130:131], v[78:79], v[104:105] neg_lo:[0,1] neg_hi:[0,1]
	v_pk_add_f32 v[104:105], v[40:41], v[42:43] neg_lo:[0,1] neg_hi:[0,1]
	;; [unrolled: 1-line block ×4, first 2 shown]
	v_mov_b32_e32 v114, v1
	v_pk_fma_f32 v[96:97], v[96:97], v[8:9], v[140:141]
	v_fma_f32 v31, v88, 2.0, -v108
	v_pk_add_f32 v[88:89], v[86:87], v[44:45] neg_lo:[0,1] neg_hi:[0,1]
	v_pk_add_f32 v[44:45], v[90:91], v[126:127] neg_lo:[0,1] neg_hi:[0,1]
	v_pk_mul_f32 v[114:115], v[82:83], v[114:115]
	v_fma_f32 v97, v90, 2.0, -v44
	v_mov_b32_e32 v90, v1
	v_mov_b32_e32 v91, v9
	v_pk_fma_f32 v[114:115], v[32:33], v[0:1], v[114:115] neg_lo:[0,0,1] neg_hi:[0,0,1]
	v_fma_f32 v99, v86, 2.0, -v88
	v_mov_b32_e32 v86, v0
	v_mov_b32_e32 v87, v8
	v_pk_mul_f32 v[32:33], v[32:33], v[90:91]
	v_mov_b32_e32 v132, v17
	v_pk_fma_f32 v[90:91], v[82:83], v[86:87], v[32:33]
	v_pk_fma_f32 v[82:83], v[82:83], v[86:87], v[32:33] neg_lo:[0,0,1] neg_hi:[0,0,1]
	v_mov_b32_e32 v86, v15
	v_mov_b32_e32 v87, v19
	;; [unrolled: 1-line block ×4, first 2 shown]
	v_pk_mul_f32 v[38:39], v[38:39], v[86:87]
	v_pk_mul_f32 v[132:133], v[80:81], v[132:133]
	v_pk_fma_f32 v[86:87], v[84:85], v[14:15], v[38:39]
	v_pk_fma_f32 v[32:33], v[84:85], v[32:33], v[38:39] neg_lo:[0,0,1] neg_hi:[0,0,1]
	v_mov_b32_e32 v38, v17
	v_mov_b32_e32 v39, v25
	v_pk_fma_f32 v[118:119], v[28:29], v[16:17], v[132:133] neg_lo:[0,0,1] neg_hi:[0,0,1]
	v_mov_b32_e32 v87, v33
	v_mov_b32_e32 v32, v16
	v_mov_b32_e32 v33, v24
	v_pk_mul_f32 v[28:29], v[28:29], v[38:39]
	v_pk_fma_f32 v[106:107], v[106:107], v[18:19], v[150:151]
	v_mov_b32_e32 v128, v37
	v_pk_fma_f32 v[38:39], v[80:81], v[16:17], v[28:29]
	v_pk_fma_f32 v[28:29], v[80:81], v[32:33], v[28:29] neg_lo:[0,0,1] neg_hi:[0,0,1]
	v_mov_b32_e32 v120, v93
	v_pk_mul_f32 v[92:93], v[92:93], v[128:129]
	v_pk_add_f32 v[106:107], v[94:95], v[106:107] neg_lo:[0,1] neg_hi:[0,1]
	v_mov_b32_e32 v39, v29
	v_mov_b32_e32 v28, v79
	;; [unrolled: 1-line block ×3, first 2 shown]
	v_mov_b32_e32 v119, 2.0
	v_pk_fma_f32 v[128:129], v[120:121], v[36:37], v[92:93]
	v_fma_f32 v43, v94, 2.0, -v106
	v_pk_add_f32 v[94:95], v[100:101], v[110:111] neg_lo:[0,1] neg_hi:[0,1]
	v_pk_add_f32 v[126:127], v[28:29], v[86:87] neg_lo:[0,1] neg_hi:[0,1]
	v_pk_add_f32 v[110:111], v[114:115], v[118:119] op_sel_hi:[0,1] neg_lo:[0,1] neg_hi:[0,1]
	v_pk_mul_f32 v[28:29], v[114:115], v[118:119] op_sel_hi:[0,1]
	v_mov_b32_e32 v91, v83
	v_mov_b32_e32 v111, v29
	;; [unrolled: 1-line block ×5, first 2 shown]
	v_add_f32_e32 v105, v30, v30
	v_fma_f32 v77, v100, 2.0, -v94
	v_pk_add_f32 v[38:39], v[90:91], v[38:39] neg_lo:[0,1] neg_hi:[0,1]
	v_pk_add_f32 v[84:85], v[110:111], v[94:95] neg_lo:[0,1] neg_hi:[0,1]
	;; [unrolled: 1-line block ×3, first 2 shown]
	v_mov_b32_e32 v107, v116
	v_mov_b32_e32 v109, v46
	v_add_f32_e32 v120, v106, v106
	v_fma_f32 v33, v90, 2.0, -v38
	v_add_f32_e32 v89, v83, v83
	v_pk_add_f32 v[92:93], v[104:105], v[126:127]
	v_fma_f32 v87, v96, 2.0, -v95
	v_fma_f32 v28, v102, 2.0, -v94
	v_mov_b32_e32 v90, v39
	v_mov_b32_e32 v91, v44
	v_pk_add_f32 v[118:119], v[106:107], v[108:109]
	v_pk_add_f32 v[106:107], v[106:107], v[108:109] neg_lo:[0,1] neg_hi:[0,1]
	v_add_f32_e32 v112, v126, v126
	v_pk_add_f32 v[100:101], v[88:89], v[38:39]
	v_pk_add_f32 v[80:81], v[88:89], v[38:39] neg_lo:[0,1] neg_hi:[0,1]
	v_sub_f32_e32 v89, v87, v28
	v_pk_add_f32 v[102:103], v[90:91], v[94:95] neg_lo:[0,1] neg_hi:[0,1]
	v_pk_add_f32 v[90:91], v[90:91], v[94:95]
	v_mov_b32_e32 v119, v107
	v_fma_f32 v28, v116, 2.0, -v107
	v_mov_b32_e32 v113, v130
	v_mov_b32_e32 v106, v92
	;; [unrolled: 1-line block ×5, first 2 shown]
	v_mul_f32_e32 v96, 0x3f3504f3, v91
	v_mov_b32_e32 v111, v38
	v_mov_b32_e32 v90, v84
	;; [unrolled: 1-line block ×4, first 2 shown]
	v_pk_add_f32 v[112:113], v[112:113], v[106:107] neg_lo:[0,1] neg_hi:[0,1]
	v_pk_add_f32 v[106:107], v[120:121], v[118:119] neg_lo:[0,1] neg_hi:[0,1]
	v_pk_fma_f32 v[90:91], v[110:111], 2.0, v[90:91] op_sel_hi:[1,0,1] neg_lo:[0,0,1] neg_hi:[0,0,1]
	v_pk_fma_f32 v[38:39], v[94:95], 2.0, v[102:103] op_sel_hi:[1,0,1] neg_lo:[0,0,1] neg_hi:[0,0,1]
	v_fma_f32 v108, v127, 2.0, -v107
	v_mov_b32_e32 v109, v118
	v_fma_f32 v40, v40, 2.0, -v104
	v_fma_f32 v41, v98, 2.0, -v42
	v_pk_add_f32 v[82:83], v[104:105], v[126:127] neg_lo:[0,1] neg_hi:[0,1]
	v_mov_b32_e32 v80, v100
	v_pk_mul_f32 v[104:105], v[38:39], s[0:1] op_sel_hi:[1,0]
	v_pk_fma_f32 v[38:39], v[38:39], s[0:1], v[90:91] op_sel_hi:[1,0,1] neg_lo:[1,0,0] neg_hi:[1,0,0]
	v_mul_f32_e32 v98, 0x3f3504f3, v102
	v_pk_mul_f32 v[116:117], v[108:109], s[0:1] op_sel_hi:[1,0]
	v_fma_f32 v45, v79, 2.0, -v126
	v_mov_b32_e32 v82, v92
	v_sub_f32_e32 v29, v33, v77
	v_pk_add_f32 v[94:95], v[38:39], v[104:105] op_sel:[0,1] op_sel_hi:[1,0] neg_lo:[0,1] neg_hi:[0,1]
	v_pk_add_f32 v[110:111], v[38:39], v[104:105] op_sel:[0,1] op_sel_hi:[1,0]
	v_pk_add_f32 v[38:39], v[84:85], v[98:99]
	v_pk_add_f32 v[102:103], v[84:85], v[98:99] neg_lo:[0,1] neg_hi:[0,1]
	v_pk_add_f32 v[114:115], v[100:101], v[96:97]
	v_pk_add_f32 v[104:105], v[80:81], v[96:97] neg_lo:[0,1] neg_hi:[0,1]
	v_pk_mul_f32 v[120:121], v[106:107], s[0:1] op_sel_hi:[1,0]
	v_pk_fma_f32 v[126:127], v[106:107], s[0:1], v[112:113] op_sel_hi:[1,0,1] neg_lo:[1,0,0] neg_hi:[1,0,0]
	v_pk_fma_f32 v[106:107], v[106:107], s[0:1], v[112:113] op_sel_hi:[1,0,1]
	v_mov_b32_e32 v30, v117
	v_sub_f32_e32 v47, v45, v41
	v_mov_b32_e32 v39, v103
	v_mov_b32_e32 v115, v105
	;; [unrolled: 1-line block ×6, first 2 shown]
	v_pk_add_f32 v[116:117], v[92:93], v[116:117] op_sel:[0,1] op_sel_hi:[1,0]
	v_pk_add_f32 v[118:119], v[82:83], v[30:31] neg_lo:[0,1] neg_hi:[0,1]
	v_mov_b32_e32 v79, v130
	v_mov_b32_e32 v131, v113
	v_pk_add_f32 v[96:97], v[38:39], v[96:97] neg_lo:[0,1] neg_hi:[0,1]
	v_pk_add_f32 v[98:99], v[98:99], v[114:115]
	v_mov_b32_e32 v117, v119
	v_pk_fma_f32 v[30:31], v[108:109], s[0:1], v[126:127] op_sel_hi:[1,0,1]
	v_pk_fma_f32 v[106:107], v[108:109], s[0:1], v[106:107] op_sel_hi:[1,0,1] neg_lo:[1,0,0] neg_hi:[1,0,0]
	v_mov_b32_e32 v46, v121
	v_mov_b32_e32 v115, v120
	v_pk_fma_f32 v[120:121], v[78:79], 2.0, v[130:131] op_sel_hi:[1,0,1] neg_lo:[0,0,1] neg_hi:[0,0,1]
	v_pk_mul_f32 v[132:133], v[96:97], s[10:11]
	v_sub_f32_e32 v114, v43, v28
	v_mov_b32_e32 v106, v30
	v_pk_add_f32 v[108:109], v[46:47], v[116:117]
	v_mov_b32_e32 v30, v111
	v_mov_b32_e32 v31, v96
	v_pk_add_f32 v[116:117], v[120:121], v[40:41] neg_lo:[0,1] neg_hi:[0,1]
	v_mul_f32_e32 v39, 0x3ec3ef15, v94
	v_pk_mul_f32 v[134:135], v[98:99], s[14:15]
	v_pk_fma_f32 v[126:127], v[30:31], s[16:17], v[106:107]
	v_mov_b32_e32 v136, v94
	v_mov_b32_e32 v137, v98
	s_mov_b32 s16, s14
	s_mov_b32 s17, s10
	v_pk_add_f32 v[78:79], v[116:117], v[114:115] neg_lo:[0,1] neg_hi:[0,1]
	v_mov_b32_e32 v38, v133
	v_mul_f32_e32 v129, 0x3f6c835e, v111
	v_pk_add_f32 v[30:31], v[78:79], v[38:39]
	v_mov_b32_e32 v128, v135
	v_pk_fma_f32 v[40:41], v[98:99], s[14:15], v[108:109]
	v_pk_fma_f32 v[38:39], v[94:95], s[16:17], v[126:127]
	v_pk_fma_f32 v[126:127], v[136:137], s[16:17], v[126:127] neg_lo:[1,0,0] neg_hi:[1,0,0]
	v_pk_add_f32 v[30:31], v[30:31], v[128:129] neg_lo:[0,1] neg_hi:[0,1]
	v_mov_b32_e32 v39, v127
	v_pk_fma_f32 v[40:41], v[96:97], s[10:11], v[40:41]
	s_and_saveexec_b64 s[14:15], vcc
	s_cbranch_execz .LBB0_5
; %bb.4:
	v_fma_f32 v28, v92, 2.0, -v108
	v_fma_f32 v32, v100, 2.0, -v98
	v_fmamk_f32 v93, v32, 0xbec3ef15, v28
	v_fma_f32 v42, v84, 2.0, -v96
	v_fmac_f32_e32 v93, 0x3f6c835e, v42
	v_fma_f32 v101, v28, 2.0, -v93
	v_fma_f32 v28, v113, 2.0, -v107
	v_fmamk_f32 v92, v42, 0xbec3ef15, v28
	v_fmac_f32_e32 v92, 0xbf6c835e, v32
	v_fma_f32 v100, v28, 2.0, -v92
	v_mov_b32_e32 v44, v120
	v_mov_b32_e32 v117, v47
	;; [unrolled: 1-line block ×9, first 2 shown]
	v_pk_fma_f32 v[44:45], v[44:45], 2.0, v[116:117] op_sel_hi:[1,0,1] neg_lo:[0,0,1] neg_hi:[0,0,1]
	v_pk_fma_f32 v[42:43], v[42:43], 2.0, v[46:47] op_sel_hi:[1,0,1] neg_lo:[0,0,1] neg_hi:[0,0,1]
	;; [unrolled: 1-line block ×4, first 2 shown]
	v_pk_add_f32 v[42:43], v[44:45], v[42:43] neg_lo:[0,1] neg_hi:[0,1]
	v_pk_add_f32 v[46:47], v[32:33], v[46:47] neg_lo:[0,1] neg_hi:[0,1]
	v_pk_fma_f32 v[44:45], v[44:45], 2.0, v[42:43] op_sel_hi:[1,0,1] neg_lo:[0,0,1] neg_hi:[0,0,1]
	v_pk_fma_f32 v[32:33], v[32:33], 2.0, v[46:47] op_sel_hi:[1,0,1] neg_lo:[0,0,1] neg_hi:[0,0,1]
	v_mov_b32_e32 v95, v111
	v_pk_add_f32 v[32:33], v[44:45], v[32:33] neg_lo:[0,1] neg_hi:[0,1]
	v_mov_b32_e32 v80, v121
	v_pk_fma_f32 v[44:45], v[44:45], 2.0, v[32:33] op_sel_hi:[1,0,1] neg_lo:[0,0,1] neg_hi:[0,0,1]
	v_mov_b32_e32 v81, v112
	v_mov_b32_e32 v82, v79
	;; [unrolled: 1-line block ×3, first 2 shown]
	s_mov_b32 s16, 0xbf6c835e
	ds_write_b64 v123, v[44:45]
	v_pk_fma_f32 v[44:45], v[90:91], 2.0, v[94:95] op_sel_hi:[1,0,1] neg_lo:[0,0,1] neg_hi:[0,0,1]
	v_pk_fma_f32 v[80:81], v[80:81], 2.0, v[82:83] op_sel_hi:[1,0,1] neg_lo:[0,0,1] neg_hi:[0,0,1]
	v_mov_b32_e32 v98, v97
	v_pk_fma_f32 v[84:85], v[44:45], s[16:17], v[80:81] op_sel_hi:[1,0,1]
	v_pk_mul_f32 v[44:45], v[44:45], s[10:11] op_sel_hi:[1,0]
	v_mov_b32_e32 v79, v109
	v_pk_add_f32 v[86:87], v[84:85], v[44:45] op_sel:[0,1] op_sel_hi:[1,0] neg_lo:[0,1] neg_hi:[0,1]
	v_pk_add_f32 v[44:45], v[84:85], v[44:45] op_sel:[0,1] op_sel_hi:[1,0]
	v_pk_fma_f32 v[28:29], v[28:29], 2.0, v[98:99] op_sel_hi:[1,0,1] neg_lo:[0,0,1] neg_hi:[0,0,1]
	v_mov_b32_e32 v87, v45
	v_pk_fma_f32 v[84:85], v[116:117], 2.0, v[78:79] op_sel_hi:[1,0,1] neg_lo:[0,0,1] neg_hi:[0,0,1]
	v_pk_fma_f32 v[44:45], v[80:81], 2.0, v[86:87] op_sel_hi:[1,0,1] neg_lo:[0,0,1] neg_hi:[0,0,1]
	v_pk_mul_f32 v[80:81], v[28:29], s[0:1] op_sel_hi:[1,0]
	v_pk_fma_f32 v[28:29], v[28:29], s[0:1], v[84:85] op_sel_hi:[1,0,1] neg_lo:[1,0,0] neg_hi:[1,0,0]
	s_nop 0
	v_pk_add_f32 v[88:89], v[28:29], v[80:81] op_sel:[0,1] op_sel_hi:[1,0] neg_lo:[0,1] neg_hi:[0,1]
	v_pk_add_f32 v[28:29], v[28:29], v[80:81] op_sel:[0,1] op_sel_hi:[1,0]
	s_nop 0
	v_mov_b32_e32 v89, v29
	v_pk_fma_f32 v[28:29], v[84:85], 2.0, v[88:89] op_sel_hi:[1,0,1] neg_lo:[0,0,1] neg_hi:[0,0,1]
	ds_write2_b64 v67, v[44:45], v[28:29] offset0:13 offset1:26
	v_pk_add_f32 v[28:29], v[42:43], v[46:47] op_sel:[0,1] op_sel_hi:[1,0] neg_lo:[0,1] neg_hi:[0,1]
	v_pk_add_f32 v[44:45], v[42:43], v[46:47] op_sel:[0,1] op_sel_hi:[1,0]
	v_mov_b32_e32 v46, v30
	v_mov_b32_e32 v29, v45
	v_pk_fma_f32 v[42:43], v[42:43], 2.0, v[28:29] op_sel_hi:[1,0,1] neg_lo:[0,0,1] neg_hi:[0,0,1]
	ds_write2_b64 v67, v[100:101], v[42:43] offset0:39 offset1:52
	v_mov_b32_e32 v42, v31
	v_mov_b32_e32 v43, v38
	;; [unrolled: 1-line block ×3, first 2 shown]
	v_pk_fma_f32 v[44:45], v[82:83], 2.0, v[42:43] op_sel_hi:[1,0,1] neg_lo:[0,0,1] neg_hi:[0,0,1]
	v_pk_fma_f32 v[78:79], v[78:79], 2.0, v[46:47] op_sel_hi:[1,0,1] neg_lo:[0,0,1] neg_hi:[0,0,1]
	ds_write2_b64 v67, v[44:45], v[78:79] offset0:65 offset1:78
	v_mov_b32_e32 v44, v107
	v_mov_b32_e32 v45, v108
	;; [unrolled: 1-line block ×4, first 2 shown]
	v_pk_fma_f32 v[44:45], v[44:45], 2.0, v[78:79] op_sel_hi:[1,0,1] neg_lo:[0,0,1] neg_hi:[0,0,1]
	ds_write2_b64 v67, v[44:45], v[32:33] offset0:91 offset1:104
	ds_write2_b64 v67, v[86:87], v[88:89] offset0:117 offset1:130
	;; [unrolled: 1-line block ×4, first 2 shown]
	ds_write_b64 v67, v[78:79] offset:1560
.LBB0_5:
	s_or_b64 exec, exec, s[14:15]
	s_waitcnt lgkmcnt(0)
	; wave barrier
	s_waitcnt lgkmcnt(0)
	global_load_dwordx2 v[28:29], v[34:35], off offset:1664
	s_add_u32 s0, s12, 0x680
	s_addc_u32 s1, s13, 0
	global_load_dwordx2 v[46:47], v76, s[0:1] offset:128
	global_load_dwordx2 v[92:93], v76, s[0:1] offset:256
	;; [unrolled: 1-line block ×12, first 2 shown]
	ds_read_b64 v[32:33], v123
	s_mov_b32 s1, 0x3f62ad3f
	s_mov_b32 s0, 0xbeedf032
	;; [unrolled: 1-line block ×31, first 2 shown]
	s_waitcnt vmcnt(12) lgkmcnt(0)
	v_mul_f32_e32 v34, v33, v29
	v_mul_f32_e32 v35, v32, v29
	v_fma_f32 v34, v32, v28, -v34
	v_fmac_f32_e32 v35, v33, v28
	ds_write_b64 v123, v[34:35]
	ds_read2_b64 v[32:35], v67 offset0:16 offset1:32
	ds_read2_b64 v[42:45], v67 offset0:48 offset1:64
	;; [unrolled: 1-line block ×6, first 2 shown]
	s_waitcnt vmcnt(11) lgkmcnt(5)
	v_mul_f32_e32 v28, v33, v47
	v_mul_f32_e32 v29, v32, v47
	s_waitcnt vmcnt(10)
	v_mul_f32_e32 v114, v35, v93
	v_mul_f32_e32 v47, v34, v93
	s_waitcnt vmcnt(9) lgkmcnt(4)
	v_mul_f32_e32 v115, v43, v95
	v_mul_f32_e32 v93, v42, v95
	s_waitcnt vmcnt(8)
	v_mul_f32_e32 v116, v45, v97
	v_mul_f32_e32 v95, v44, v97
	;; [unrolled: 6-line block ×6, first 2 shown]
	v_fma_f32 v28, v32, v46, -v28
	v_fmac_f32_e32 v29, v33, v46
	v_fma_f32 v46, v34, v92, -v114
	v_fmac_f32_e32 v47, v35, v92
	;; [unrolled: 2-line block ×12, first 2 shown]
	ds_write2_b64 v67, v[28:29], v[46:47] offset0:16 offset1:32
	ds_write2_b64 v67, v[92:93], v[94:95] offset0:48 offset1:64
	;; [unrolled: 1-line block ×6, first 2 shown]
	s_waitcnt lgkmcnt(0)
	; wave barrier
	s_waitcnt lgkmcnt(0)
	ds_read2_b64 v[32:35], v67 offset0:176 offset1:192
	ds_read_b64 v[44:45], v123
	ds_read2_b64 v[90:93], v67 offset0:16 offset1:32
	ds_read2_b64 v[94:97], v67 offset0:48 offset1:64
	;; [unrolled: 1-line block ×5, first 2 shown]
	s_waitcnt lgkmcnt(4)
	v_pk_add_f32 v[42:43], v[44:45], v[90:91]
	v_pk_add_f32 v[88:89], v[34:35], v[90:91]
	;; [unrolled: 1-line block ×3, first 2 shown]
	v_pk_add_f32 v[28:29], v[90:91], v[34:35] neg_lo:[0,1] neg_hi:[0,1]
	s_waitcnt lgkmcnt(3)
	v_pk_add_f32 v[42:43], v[42:43], v[94:95]
	v_pk_add_f32 v[86:87], v[32:33], v[92:93]
	;; [unrolled: 1-line block ×3, first 2 shown]
	v_pk_add_f32 v[76:77], v[92:93], v[32:33] neg_lo:[0,1] neg_hi:[0,1]
	s_waitcnt lgkmcnt(2)
	v_pk_add_f32 v[42:43], v[42:43], v[98:99]
	v_mov_b32_e32 v85, v89
	v_pk_add_f32 v[42:43], v[42:43], v[100:101]
	v_mov_b32_e32 v89, v28
	s_waitcnt lgkmcnt(1)
	v_pk_add_f32 v[42:43], v[42:43], v[102:103]
	v_mov_b32_e32 v84, v29
	v_pk_add_f32 v[42:43], v[42:43], v[104:105]
	v_pk_mul_f32 v[28:29], v[88:89], s[10:11]
	s_waitcnt lgkmcnt(0)
	v_pk_add_f32 v[42:43], v[42:43], v[106:107]
	v_mov_b32_e32 v91, v87
	v_pk_add_f32 v[42:43], v[42:43], v[108:109]
	v_mov_b32_e32 v87, v76
	v_pk_add_f32 v[32:33], v[42:43], v[32:33]
	v_mov_b32_e32 v90, v77
	v_pk_add_f32 v[42:43], v[32:33], v[34:35]
	v_pk_fma_f32 v[32:33], v[84:85], s[0:1], v[28:29] neg_lo:[1,0,0] neg_hi:[1,0,0]
	v_pk_fma_f32 v[34:35], v[84:85], s[0:1], v[28:29]
	v_pk_mul_f32 v[76:77], v[86:87], s[22:23]
	v_pk_add_f32 v[82:83], v[108:109], v[94:95]
	v_pk_add_f32 v[110:111], v[94:95], v[108:109] neg_lo:[0,1] neg_hi:[0,1]
	v_pk_add_f32 v[78:79], v[104:105], v[98:99]
	v_pk_add_f32 v[114:115], v[98:99], v[104:105] neg_lo:[0,1] neg_hi:[0,1]
	v_mov_b32_e32 v33, v35
	v_pk_fma_f32 v[92:93], v[90:91], s[16:17], v[76:77] neg_lo:[1,0,0] neg_hi:[1,0,0]
	v_pk_fma_f32 v[98:99], v[90:91], s[16:17], v[76:77]
	v_pk_add_f32 v[32:33], v[44:45], v[32:33]
	v_mov_b32_e32 v93, v99
	v_mov_b32_e32 v95, v83
	;; [unrolled: 1-line block ×3, first 2 shown]
	v_pk_add_f32 v[32:33], v[92:93], v[32:33]
	v_mov_b32_e32 v94, v111
	v_pk_mul_f32 v[92:93], v[82:83], s[34:35]
	v_pk_add_f32 v[80:81], v[106:107], v[96:97]
	v_pk_add_f32 v[112:113], v[96:97], v[106:107] neg_lo:[0,1] neg_hi:[0,1]
	v_pk_add_f32 v[46:47], v[102:103], v[100:101]
	v_pk_add_f32 v[116:117], v[100:101], v[102:103] neg_lo:[0,1] neg_hi:[0,1]
	v_pk_fma_f32 v[96:97], v[94:95], s[30:31], v[92:93] neg_lo:[1,0,0] neg_hi:[1,0,0]
	v_pk_fma_f32 v[102:103], v[94:95], s[30:31], v[92:93]
	s_mov_b32 s10, 0xbf6f5d39
	v_mov_b32_e32 v97, v103
	s_mov_b32 s11, 0xbeb58ec6
	v_pk_add_f32 v[32:33], v[96:97], v[32:33]
	v_mov_b32_e32 v97, v81
	v_mov_b32_e32 v81, v112
	s_mov_b32 s14, s11
	s_mov_b32 s15, s10
	v_mov_b32_e32 v96, v113
	v_pk_mul_f32 v[106:107], v[80:81], s[14:15]
	v_pk_fma_f32 v[28:29], v[84:85], s[0:1], v[28:29] neg_lo:[0,0,1] neg_hi:[0,0,1]
	v_pk_fma_f32 v[100:101], v[96:97], s[10:11], v[106:107] neg_lo:[1,0,0] neg_hi:[1,0,0]
	v_pk_fma_f32 v[108:109], v[96:97], s[10:11], v[106:107]
	v_mov_b32_e32 v35, v29
	v_mov_b32_e32 v101, v109
	v_pk_add_f32 v[32:33], v[100:101], v[32:33]
	v_mov_b32_e32 v101, v79
	v_mov_b32_e32 v79, v114
	;; [unrolled: 1-line block ×3, first 2 shown]
	v_pk_mul_f32 v[110:111], v[78:79], s[20:21]
	v_pk_add_f32 v[28:29], v[44:45], v[34:35]
	v_pk_fma_f32 v[104:105], v[100:101], s[12:13], v[110:111] neg_lo:[1,0,0] neg_hi:[1,0,0]
	v_pk_fma_f32 v[112:113], v[100:101], s[12:13], v[110:111]
	v_pk_fma_f32 v[34:35], v[90:91], s[16:17], v[76:77] neg_lo:[0,0,1] neg_hi:[0,0,1]
	v_mov_b32_e32 v105, v113
	v_mov_b32_e32 v99, v35
	v_pk_fma_f32 v[34:35], v[94:95], s[30:31], v[92:93] neg_lo:[0,0,1] neg_hi:[0,0,1]
	v_pk_add_f32 v[32:33], v[104:105], v[32:33]
	v_mov_b32_e32 v104, v117
	v_mov_b32_e32 v105, v47
	v_pk_add_f32 v[28:29], v[98:99], v[28:29]
	v_mov_b32_e32 v103, v35
	v_pk_fma_f32 v[34:35], v[96:97], s[10:11], v[106:107] neg_lo:[0,0,1] neg_hi:[0,0,1]
	v_pk_mul_f32 v[114:115], v[104:105], s[18:19]
	v_mov_b32_e32 v47, v116
	v_pk_add_f32 v[28:29], v[102:103], v[28:29]
	v_mov_b32_e32 v109, v35
	v_pk_fma_f32 v[34:35], v[100:101], s[12:13], v[110:111] neg_lo:[0,0,1] neg_hi:[0,0,1]
	v_pk_add_f32 v[28:29], v[108:109], v[28:29]
	v_mov_b32_e32 v113, v35
	v_pk_fma_f32 v[34:35], v[46:47], s[24:25], v[114:115]
	v_pk_fma_f32 v[76:77], v[46:47], s[24:25], v[114:115] neg_lo:[1,0,0] neg_hi:[1,0,0]
	v_pk_add_f32 v[28:29], v[112:113], v[28:29]
	v_mov_b32_e32 v76, v34
	v_pk_add_f32 v[28:29], v[76:77], v[28:29]
	v_pk_fma_f32 v[76:77], v[46:47], s[24:25], v[114:115] neg_lo:[0,0,1] neg_hi:[0,0,1]
	v_pk_mul_f32 v[98:99], v[86:87], s[14:15]
	v_mov_b32_e32 v77, v35
	v_pk_add_f32 v[34:35], v[76:77], v[32:33]
	v_pk_mul_f32 v[32:33], v[88:89], s[22:23]
	v_pk_fma_f32 v[102:103], v[90:91], s[10:11], v[98:99] neg_lo:[1,0,0] neg_hi:[1,0,0]
	v_pk_fma_f32 v[76:77], v[84:85], s[16:17], v[32:33] neg_lo:[1,0,0] neg_hi:[1,0,0]
	v_pk_fma_f32 v[92:93], v[84:85], s[16:17], v[32:33]
	v_pk_fma_f32 v[32:33], v[84:85], s[16:17], v[32:33] neg_lo:[0,0,1] neg_hi:[0,0,1]
	v_mov_b32_e32 v77, v93
	v_pk_fma_f32 v[106:107], v[90:91], s[10:11], v[98:99]
	v_pk_mul_f32 v[108:109], v[82:83], s[24:25]
	v_mov_b32_e32 v93, v33
	v_pk_fma_f32 v[32:33], v[90:91], s[10:11], v[98:99] neg_lo:[0,0,1] neg_hi:[0,0,1]
	v_mov_b32_e32 v103, v107
	v_pk_fma_f32 v[110:111], v[94:95], s[18:19], v[108:109] neg_lo:[1,0,0] neg_hi:[1,0,0]
	v_pk_fma_f32 v[112:113], v[94:95], s[18:19], v[108:109]
	v_pk_mul_f32 v[114:115], v[80:81], s[40:41]
	v_mov_b32_e32 v107, v33
	v_pk_fma_f32 v[32:33], v[94:95], s[18:19], v[108:109] neg_lo:[0,0,1] neg_hi:[0,0,1]
	v_mov_b32_e32 v111, v113
	v_pk_fma_f32 v[116:117], v[96:97], s[38:39], v[114:115] neg_lo:[1,0,0] neg_hi:[1,0,0]
	;; [unrolled: 6-line block ×3, first 2 shown]
	v_pk_fma_f32 v[128:129], v[100:101], s[28:29], v[120:121]
	v_pk_add_f32 v[76:77], v[44:45], v[76:77]
	v_mov_b32_e32 v119, v33
	v_pk_fma_f32 v[32:33], v[100:101], s[28:29], v[120:121] neg_lo:[0,0,1] neg_hi:[0,0,1]
	v_mov_b32_e32 v127, v129
	v_pk_add_f32 v[76:77], v[102:103], v[76:77]
	v_mov_b32_e32 v129, v33
	v_pk_add_f32 v[32:33], v[44:45], v[92:93]
	v_pk_add_f32 v[76:77], v[110:111], v[76:77]
	s_mov_b32 s0, 0x3eedf032
	v_pk_add_f32 v[32:33], v[106:107], v[32:33]
	v_pk_add_f32 v[76:77], v[116:117], v[76:77]
	v_pk_mul_f32 v[110:111], v[104:105], s[0:1]
	s_mov_b32 s37, s0
	v_pk_add_f32 v[32:33], v[112:113], v[32:33]
	v_pk_add_f32 v[102:103], v[126:127], v[76:77]
	;; [unrolled: 1-line block ×3, first 2 shown]
	v_pk_fma_f32 v[92:93], v[46:47], s[36:37], v[110:111]
	v_pk_fma_f32 v[76:77], v[46:47], s[36:37], v[110:111] neg_lo:[1,0,0] neg_hi:[1,0,0]
	v_pk_add_f32 v[32:33], v[128:129], v[32:33]
	v_mov_b32_e32 v76, v92
	v_pk_add_f32 v[76:77], v[76:77], v[32:33]
	v_pk_fma_f32 v[32:33], v[46:47], s[36:37], v[110:111] neg_lo:[0,0,1] neg_hi:[0,0,1]
	v_pk_mul_f32 v[106:107], v[86:87], s[24:25]
	v_mov_b32_e32 v33, v93
	v_pk_mul_f32 v[92:93], v[88:89], s[34:35]
	v_pk_add_f32 v[32:33], v[32:33], v[102:103]
	v_pk_fma_f32 v[98:99], v[84:85], s[30:31], v[92:93] neg_lo:[1,0,0] neg_hi:[1,0,0]
	v_pk_fma_f32 v[102:103], v[84:85], s[30:31], v[92:93]
	s_mov_b32 s44, s11
	v_pk_fma_f32 v[92:93], v[84:85], s[30:31], v[92:93] neg_lo:[0,0,1] neg_hi:[0,0,1]
	v_mov_b32_e32 v99, v103
	v_pk_fma_f32 v[108:109], v[90:91], s[18:19], v[106:107] neg_lo:[1,0,0] neg_hi:[1,0,0]
	v_pk_fma_f32 v[110:111], v[90:91], s[18:19], v[106:107]
	s_mov_b32 s43, s11
	v_pk_mul_f32 v[112:113], v[82:83], s[44:45]
	v_mov_b32_e32 v103, v93
	v_pk_fma_f32 v[92:93], v[90:91], s[18:19], v[106:107] neg_lo:[0,0,1] neg_hi:[0,0,1]
	v_mov_b32_e32 v109, v111
	v_pk_fma_f32 v[114:115], v[94:95], s[42:43], v[112:113] neg_lo:[1,0,0] neg_hi:[1,0,0]
	v_pk_fma_f32 v[116:117], v[94:95], s[42:43], v[112:113]
	v_pk_mul_f32 v[118:119], v[80:81], s[36:37]
	v_mov_b32_e32 v111, v93
	v_pk_fma_f32 v[92:93], v[94:95], s[42:43], v[112:113] neg_lo:[0,0,1] neg_hi:[0,0,1]
	v_mov_b32_e32 v115, v117
	v_pk_fma_f32 v[120:121], v[96:97], s[0:1], v[118:119] neg_lo:[1,0,0] neg_hi:[1,0,0]
	v_pk_fma_f32 v[126:127], v[96:97], s[0:1], v[118:119]
	;; [unrolled: 6-line block ×3, first 2 shown]
	v_mov_b32_e32 v127, v93
	v_pk_fma_f32 v[92:93], v[100:101], s[16:17], v[128:129] neg_lo:[0,0,1] neg_hi:[0,0,1]
	v_mov_b32_e32 v131, v133
	v_mov_b32_e32 v133, v93
	v_pk_add_f32 v[92:93], v[44:45], v[102:103]
	v_pk_add_f32 v[98:99], v[44:45], v[98:99]
	;; [unrolled: 1-line block ×4, first 2 shown]
	v_pk_mul_f32 v[108:109], v[104:105], s[12:13]
	v_pk_add_f32 v[92:93], v[116:117], v[92:93]
	v_pk_fma_f32 v[102:103], v[46:47], s[20:21], v[108:109]
	v_pk_add_f32 v[92:93], v[126:127], v[92:93]
	v_pk_fma_f32 v[106:107], v[46:47], s[20:21], v[108:109] neg_lo:[1,0,0] neg_hi:[1,0,0]
	v_pk_add_f32 v[98:99], v[114:115], v[98:99]
	v_pk_add_f32 v[92:93], v[132:133], v[92:93]
	v_mov_b32_e32 v106, v102
	v_pk_add_f32 v[98:99], v[120:121], v[98:99]
	v_pk_add_f32 v[92:93], v[106:107], v[92:93]
	v_pk_fma_f32 v[106:107], v[46:47], s[20:21], v[108:109] neg_lo:[0,0,1] neg_hi:[0,0,1]
	v_pk_add_f32 v[98:99], v[130:131], v[98:99]
	v_mov_b32_e32 v107, v103
	v_pk_mul_f32 v[102:103], v[88:89], s[14:15]
	v_pk_add_f32 v[98:99], v[106:107], v[98:99]
	v_pk_fma_f32 v[106:107], v[84:85], s[10:11], v[102:103] neg_lo:[1,0,0] neg_hi:[1,0,0]
	v_pk_fma_f32 v[108:109], v[84:85], s[10:11], v[102:103]
	v_pk_mul_f32 v[110:111], v[86:87], s[40:41]
	v_pk_fma_f32 v[102:103], v[84:85], s[10:11], v[102:103] neg_lo:[0,0,1] neg_hi:[0,0,1]
	v_mov_b32_e32 v107, v109
	v_pk_fma_f32 v[112:113], v[90:91], s[38:39], v[110:111] neg_lo:[1,0,0] neg_hi:[1,0,0]
	v_pk_fma_f32 v[114:115], v[90:91], s[38:39], v[110:111]
	v_pk_mul_f32 v[116:117], v[82:83], s[36:37]
	s_mov_b32 s42, 0x3e750f2a
	v_mov_b32_e32 v109, v103
	v_pk_fma_f32 v[102:103], v[90:91], s[38:39], v[110:111] neg_lo:[0,0,1] neg_hi:[0,0,1]
	v_mov_b32_e32 v113, v115
	v_pk_fma_f32 v[118:119], v[94:95], s[0:1], v[116:117] neg_lo:[1,0,0] neg_hi:[1,0,0]
	v_pk_fma_f32 v[120:121], v[94:95], s[0:1], v[116:117]
	v_pk_mul_f32 v[126:127], v[80:81], s[34:35]
	s_mov_b32 s44, s19
	s_mov_b32 s45, s42
	v_mov_b32_e32 v115, v103
	v_pk_fma_f32 v[102:103], v[94:95], s[0:1], v[116:117] neg_lo:[0,0,1] neg_hi:[0,0,1]
	v_mov_b32_e32 v119, v121
	v_pk_fma_f32 v[128:129], v[96:97], s[30:31], v[126:127] neg_lo:[1,0,0] neg_hi:[1,0,0]
	v_pk_fma_f32 v[130:131], v[96:97], s[30:31], v[126:127]
	s_mov_b32 s43, s19
	v_pk_mul_f32 v[132:133], v[78:79], s[44:45]
	v_mov_b32_e32 v121, v103
	v_pk_fma_f32 v[102:103], v[96:97], s[30:31], v[126:127] neg_lo:[0,0,1] neg_hi:[0,0,1]
	v_mov_b32_e32 v129, v131
	v_pk_fma_f32 v[134:135], v[100:101], s[42:43], v[132:133] neg_lo:[1,0,0] neg_hi:[1,0,0]
	v_pk_fma_f32 v[136:137], v[100:101], s[42:43], v[132:133]
	v_pk_add_f32 v[106:107], v[44:45], v[106:107]
	v_mov_b32_e32 v131, v103
	v_pk_fma_f32 v[102:103], v[100:101], s[42:43], v[132:133] neg_lo:[0,0,1] neg_hi:[0,0,1]
	v_mov_b32_e32 v135, v137
	v_pk_add_f32 v[106:107], v[112:113], v[106:107]
	v_mov_b32_e32 v137, v103
	v_pk_add_f32 v[102:103], v[44:45], v[108:109]
	v_pk_add_f32 v[106:107], v[118:119], v[106:107]
	s_mov_b32 s34, 0x3f52af12
	s_mov_b32 s35, s17
	v_pk_add_f32 v[102:103], v[114:115], v[102:103]
	v_pk_add_f32 v[106:107], v[128:129], v[106:107]
	v_pk_mul_f32 v[118:119], v[104:105], s[34:35]
	s_mov_b32 s40, s17
	s_mov_b32 s41, s34
	v_pk_add_f32 v[102:103], v[120:121], v[102:103]
	v_pk_add_f32 v[112:113], v[134:135], v[106:107]
	;; [unrolled: 1-line block ×3, first 2 shown]
	v_pk_fma_f32 v[108:109], v[46:47], s[40:41], v[118:119]
	v_pk_fma_f32 v[106:107], v[46:47], s[40:41], v[118:119] neg_lo:[1,0,0] neg_hi:[1,0,0]
	v_pk_add_f32 v[102:103], v[136:137], v[102:103]
	v_mov_b32_e32 v106, v108
	v_pk_add_f32 v[106:107], v[106:107], v[102:103]
	v_pk_fma_f32 v[102:103], v[46:47], s[40:41], v[118:119] neg_lo:[0,0,1] neg_hi:[0,0,1]
	v_pk_mul_f32 v[114:115], v[86:87], s[26:27]
	v_mov_b32_e32 v103, v109
	v_pk_mul_f32 v[108:109], v[88:89], s[20:21]
	v_pk_add_f32 v[102:103], v[102:103], v[112:113]
	v_pk_fma_f32 v[110:111], v[84:85], s[12:13], v[108:109] neg_lo:[1,0,0] neg_hi:[1,0,0]
	v_pk_fma_f32 v[112:113], v[84:85], s[12:13], v[108:109]
	v_pk_fma_f32 v[108:109], v[84:85], s[12:13], v[108:109] neg_lo:[0,0,1] neg_hi:[0,0,1]
	v_mov_b32_e32 v111, v113
	v_pk_fma_f32 v[116:117], v[90:91], s[28:29], v[114:115] neg_lo:[1,0,0] neg_hi:[1,0,0]
	v_pk_fma_f32 v[118:119], v[90:91], s[28:29], v[114:115]
	v_pk_mul_f32 v[120:121], v[82:83], s[22:23]
	v_mov_b32_e32 v113, v109
	v_pk_fma_f32 v[108:109], v[90:91], s[28:29], v[114:115] neg_lo:[0,0,1] neg_hi:[0,0,1]
	v_mov_b32_e32 v117, v119
	v_pk_fma_f32 v[126:127], v[94:95], s[16:17], v[120:121] neg_lo:[1,0,0] neg_hi:[1,0,0]
	v_pk_fma_f32 v[128:129], v[94:95], s[16:17], v[120:121]
	v_pk_mul_f32 v[130:131], v[80:81], s[44:45]
	v_mov_b32_e32 v119, v109
	;; [unrolled: 6-line block ×3, first 2 shown]
	v_pk_fma_f32 v[108:109], v[96:97], s[42:43], v[130:131] neg_lo:[0,0,1] neg_hi:[0,0,1]
	v_mov_b32_e32 v133, v135
	v_pk_fma_f32 v[138:139], v[100:101], s[0:1], v[136:137] neg_lo:[1,0,0] neg_hi:[1,0,0]
	v_pk_fma_f32 v[140:141], v[100:101], s[0:1], v[136:137]
	v_mov_b32_e32 v135, v109
	v_pk_fma_f32 v[108:109], v[100:101], s[0:1], v[136:137] neg_lo:[0,0,1] neg_hi:[0,0,1]
	v_mov_b32_e32 v139, v141
	v_mov_b32_e32 v141, v109
	v_pk_add_f32 v[108:109], v[44:45], v[112:113]
	v_pk_add_f32 v[110:111], v[44:45], v[110:111]
	;; [unrolled: 1-line block ×4, first 2 shown]
	v_pk_mul_f32 v[116:117], v[104:105], s[10:11]
	v_pk_add_f32 v[108:109], v[128:129], v[108:109]
	v_pk_fma_f32 v[112:113], v[46:47], s[14:15], v[116:117]
	v_pk_add_f32 v[108:109], v[134:135], v[108:109]
	v_pk_fma_f32 v[114:115], v[46:47], s[14:15], v[116:117] neg_lo:[1,0,0] neg_hi:[1,0,0]
	v_pk_add_f32 v[110:111], v[126:127], v[110:111]
	v_pk_add_f32 v[108:109], v[140:141], v[108:109]
	v_mov_b32_e32 v114, v112
	v_pk_add_f32 v[110:111], v[132:133], v[110:111]
	v_pk_add_f32 v[108:109], v[114:115], v[108:109]
	v_pk_fma_f32 v[114:115], v[46:47], s[14:15], v[116:117] neg_lo:[0,0,1] neg_hi:[0,0,1]
	v_pk_add_f32 v[110:111], v[138:139], v[110:111]
	v_mov_b32_e32 v115, v113
	v_pk_mul_f32 v[88:89], v[88:89], s[24:25]
	v_pk_add_f32 v[110:111], v[114:115], v[110:111]
	v_pk_fma_f32 v[112:113], v[84:85], s[18:19], v[88:89] neg_lo:[1,0,0] neg_hi:[1,0,0]
	v_pk_fma_f32 v[114:115], v[84:85], s[18:19], v[88:89]
	v_pk_mul_f32 v[86:87], v[86:87], s[36:37]
	v_pk_fma_f32 v[84:85], v[84:85], s[18:19], v[88:89] neg_lo:[0,0,1] neg_hi:[0,0,1]
	v_mov_b32_e32 v113, v115
	v_pk_fma_f32 v[116:117], v[90:91], s[0:1], v[86:87] neg_lo:[1,0,0] neg_hi:[1,0,0]
	v_pk_fma_f32 v[118:119], v[90:91], s[0:1], v[86:87]
	v_pk_mul_f32 v[82:83], v[82:83], s[20:21]
	v_mov_b32_e32 v115, v85
	v_pk_fma_f32 v[84:85], v[90:91], s[0:1], v[86:87] neg_lo:[0,0,1] neg_hi:[0,0,1]
	v_mov_b32_e32 v117, v119
	v_pk_fma_f32 v[120:121], v[94:95], s[12:13], v[82:83] neg_lo:[1,0,0] neg_hi:[1,0,0]
	v_pk_fma_f32 v[126:127], v[94:95], s[12:13], v[82:83]
	v_pk_mul_f32 v[80:81], v[80:81], s[40:41]
	v_pk_add_f32 v[112:113], v[44:45], v[112:113]
	v_mov_b32_e32 v119, v85
	v_pk_fma_f32 v[82:83], v[94:95], s[12:13], v[82:83] neg_lo:[0,0,1] neg_hi:[0,0,1]
	v_pk_add_f32 v[44:45], v[44:45], v[114:115]
	v_mov_b32_e32 v121, v127
	v_pk_fma_f32 v[128:129], v[96:97], s[34:35], v[80:81] neg_lo:[1,0,0] neg_hi:[1,0,0]
	v_pk_fma_f32 v[130:131], v[96:97], s[34:35], v[80:81]
	v_pk_mul_f32 v[78:79], v[78:79], s[14:15]
	v_mov_b32_e32 v127, v83
	v_pk_fma_f32 v[80:81], v[96:97], s[34:35], v[80:81] neg_lo:[0,0,1] neg_hi:[0,0,1]
	v_pk_add_f32 v[44:45], v[118:119], v[44:45]
	v_mov_b32_e32 v129, v131
	v_pk_fma_f32 v[132:133], v[100:101], s[10:11], v[78:79] neg_lo:[1,0,0] neg_hi:[1,0,0]
	v_pk_fma_f32 v[134:135], v[100:101], s[10:11], v[78:79]
	v_pk_mul_f32 v[104:105], v[104:105], s[28:29]
	v_mov_b32_e32 v131, v81
	v_pk_fma_f32 v[78:79], v[100:101], s[10:11], v[78:79] neg_lo:[0,0,1] neg_hi:[0,0,1]
	v_pk_add_f32 v[44:45], v[126:127], v[44:45]
	v_mov_b32_e32 v133, v135
	v_pk_add_f32 v[112:113], v[116:117], v[112:113]
	v_mov_b32_e32 v135, v79
	v_pk_add_f32 v[44:45], v[130:131], v[44:45]
	v_pk_fma_f32 v[80:81], v[46:47], s[26:27], v[104:105]
	v_pk_fma_f32 v[78:79], v[46:47], s[26:27], v[104:105] neg_lo:[1,0,0] neg_hi:[1,0,0]
	v_pk_add_f32 v[112:113], v[120:121], v[112:113]
	v_pk_add_f32 v[44:45], v[134:135], v[44:45]
	v_mov_b32_e32 v78, v80
	v_pk_add_f32 v[112:113], v[128:129], v[112:113]
	v_pk_add_f32 v[78:79], v[78:79], v[44:45]
	v_pk_fma_f32 v[44:45], v[46:47], s[26:27], v[104:105] neg_lo:[0,0,1] neg_hi:[0,0,1]
	v_pk_add_f32 v[112:113], v[132:133], v[112:113]
	v_mov_b32_e32 v45, v81
	v_pk_add_f32 v[44:45], v[44:45], v[112:113]
	s_waitcnt lgkmcnt(0)
	; wave barrier
	ds_write2_b64 v124, v[42:43], v[28:29] offset1:1
	ds_write2_b64 v124, v[76:77], v[92:93] offset0:2 offset1:3
	ds_write2_b64 v124, v[106:107], v[108:109] offset0:4 offset1:5
	;; [unrolled: 1-line block ×5, first 2 shown]
	ds_write_b64 v124, v[34:35] offset:96
	s_waitcnt lgkmcnt(0)
	; wave barrier
	s_waitcnt lgkmcnt(0)
	s_and_saveexec_b64 s[0:1], s[2:3]
	s_xor_b64 s[0:1], exec, s[0:1]
	s_andn2_saveexec_b64 s[0:1], s[0:1]
	s_cbranch_execz .LBB0_7
; %bb.6:
	ds_read2_b64 v[80:83], v67 offset0:13 offset1:26
	ds_read2_b64 v[84:87], v67 offset0:39 offset1:52
	;; [unrolled: 1-line block ×3, first 2 shown]
	ds_read_b64 v[42:43], v123
	ds_read_b64 v[92:93], v67 offset:1560
	ds_read2_b64 v[28:31], v67 offset0:169 offset1:182
	ds_read2_b64 v[44:47], v67 offset0:91 offset1:104
	ds_read2_b64 v[88:91], v67 offset0:117 offset1:130
	ds_read2_b64 v[32:35], v67 offset0:143 offset1:156
	s_waitcnt lgkmcnt(4)
	v_mov_b32_e32 v40, v93
	s_waitcnt lgkmcnt(3)
	v_mov_b32_e32 v41, v31
	v_mov_b32_e32 v38, v29
	;; [unrolled: 1-line block ×4, first 2 shown]
	s_waitcnt lgkmcnt(1)
	v_mov_b64_e32 v[98:99], v[90:91]
	v_mov_b64_e32 v[102:103], v[88:89]
	;; [unrolled: 1-line block ×8, first 2 shown]
.LBB0_7:
	s_or_b64 exec, exec, s[0:1]
	s_and_saveexec_b64 s[0:1], vcc
	s_cbranch_execz .LBB0_9
; %bb.8:
	v_pk_mul_f32 v[82:83], v[6:7], v[78:79] op_sel:[0,1]
	v_pk_mul_f32 v[84:85], v[22:23], v[40:41] op_sel:[0,1]
	v_pk_fma_f32 v[118:119], v[6:7], v[78:79], v[82:83] op_sel:[0,0,1] op_sel_hi:[1,1,0]
	v_pk_fma_f32 v[6:7], v[6:7], v[78:79], v[82:83] op_sel:[0,0,1] op_sel_hi:[1,0,0] neg_lo:[1,0,0] neg_hi:[1,0,0]
	v_pk_mul_f32 v[46:47], v[2:3], v[76:77] op_sel:[0,1]
	v_mov_b32_e32 v119, v7
	v_pk_fma_f32 v[6:7], v[22:23], v[30:31], v[84:85] op_sel:[0,0,1] op_sel_hi:[1,1,0]
	v_pk_fma_f32 v[22:23], v[22:23], v[30:31], v[84:85] op_sel:[0,0,1] op_sel_hi:[1,0,0] neg_lo:[1,0,0] neg_hi:[1,0,0]
	v_pk_mul_f32 v[80:81], v[18:19], v[98:99] op_sel:[0,1]
	v_mov_b32_e32 v7, v23
	;; [unrolled: 4-line block ×3, first 2 shown]
	v_pk_fma_f32 v[2:3], v[18:19], v[98:99], v[80:81] op_sel:[0,0,1] op_sel_hi:[1,1,0]
	v_pk_fma_f32 v[18:19], v[18:19], v[98:99], v[80:81] op_sel:[0,0,1] op_sel_hi:[1,0,0] neg_lo:[1,0,0] neg_hi:[1,0,0]
	s_waitcnt lgkmcnt(0)
	v_pk_mul_f32 v[90:91], v[26:27], v[34:35] op_sel:[0,1]
	v_mov_b32_e32 v3, v19
	v_pk_fma_f32 v[18:19], v[10:11], v[106:107], v[88:89] op_sel:[0,0,1] op_sel_hi:[1,1,0]
	v_pk_fma_f32 v[10:11], v[10:11], v[106:107], v[88:89] op_sel:[0,0,1] op_sel_hi:[1,0,0] neg_lo:[1,0,0] neg_hi:[1,0,0]
	v_pk_mul_f32 v[86:87], v[14:15], v[110:111] op_sel:[0,1]
	v_mov_b32_e32 v19, v11
	v_pk_fma_f32 v[10:11], v[26:27], v[34:35], v[90:91] op_sel:[0,0,1] op_sel_hi:[1,1,0]
	v_pk_fma_f32 v[26:27], v[26:27], v[34:35], v[90:91] op_sel:[0,0,1] op_sel_hi:[1,0,0] neg_lo:[1,0,0] neg_hi:[1,0,0]
	;; [unrolled: 4-line block ×3, first 2 shown]
	v_pk_mul_f32 v[40:41], v[36:37], v[40:41] op_sel_hi:[1,0]
	v_mov_b32_e32 v27, v15
	v_pk_add_f32 v[14:15], v[42:43], v[26:27] neg_lo:[0,1] neg_hi:[0,1]
	v_pk_fma_f32 v[26:27], v[12:13], v[44:45], v[100:101] op_sel:[0,0,1] op_sel_hi:[1,1,0]
	v_pk_fma_f32 v[12:13], v[12:13], v[44:45], v[100:101] op_sel:[0,0,1] op_sel_hi:[1,0,0] neg_lo:[1,0,0] neg_hi:[1,0,0]
	v_pk_mul_f32 v[94:95], v[8:9], v[92:93] op_sel:[0,1]
	v_mov_b32_e32 v27, v13
	v_pk_fma_f32 v[12:13], v[36:37], v[38:39], v[40:41] op_sel:[0,1,1] op_sel_hi:[1,1,0]
	v_pk_fma_f32 v[34:35], v[36:37], v[38:39], v[40:41] op_sel:[0,1,1] op_sel_hi:[1,1,0] neg_lo:[1,0,0] neg_hi:[1,0,0]
	v_pk_mul_f32 v[96:97], v[24:25], v[32:33] op_sel:[0,1]
	v_mov_b32_e32 v13, v35
	;; [unrolled: 4-line block ×3, first 2 shown]
	v_pk_fma_f32 v[8:9], v[24:25], v[32:33], v[96:97] op_sel:[0,0,1] op_sel_hi:[1,1,0]
	v_pk_fma_f32 v[24:25], v[24:25], v[32:33], v[96:97] op_sel:[0,0,1] op_sel_hi:[1,0,0] neg_lo:[1,0,0] neg_hi:[1,0,0]
	v_pk_mul_f32 v[116:117], v[20:21], v[38:39] op_sel_hi:[1,0]
	v_mov_b32_e32 v9, v25
	v_pk_fma_f32 v[24:25], v[4:5], v[108:109], v[114:115] op_sel:[0,0,1] op_sel_hi:[1,1,0]
	v_pk_fma_f32 v[4:5], v[4:5], v[108:109], v[114:115] op_sel:[0,0,1] op_sel_hi:[1,0,0] neg_lo:[1,0,0] neg_hi:[1,0,0]
	v_pk_mul_f32 v[104:105], v[0:1], v[28:29] op_sel:[0,1]
	v_mov_b32_e32 v25, v5
	v_pk_fma_f32 v[4:5], v[20:21], v[30:31], v[116:117] op_sel:[0,1,1] op_sel_hi:[1,1,0]
	v_pk_fma_f32 v[20:21], v[20:21], v[30:31], v[116:117] op_sel:[0,1,1] op_sel_hi:[1,1,0] neg_lo:[1,0,0] neg_hi:[1,0,0]
	v_pk_mul_f32 v[112:113], v[16:17], v[102:103] op_sel:[0,1]
	v_mov_b32_e32 v5, v21
	v_pk_fma_f32 v[20:21], v[0:1], v[28:29], v[104:105] op_sel:[0,0,1] op_sel_hi:[1,1,0]
	v_pk_fma_f32 v[0:1], v[0:1], v[28:29], v[104:105] op_sel:[0,0,1] op_sel_hi:[1,0,0] neg_lo:[1,0,0] neg_hi:[1,0,0]
	v_pk_add_f32 v[6:7], v[118:119], v[6:7] neg_lo:[0,1] neg_hi:[0,1]
	v_mov_b32_e32 v21, v1
	v_pk_fma_f32 v[0:1], v[16:17], v[102:103], v[112:113] op_sel:[0,0,1] op_sel_hi:[1,1,0]
	v_pk_fma_f32 v[16:17], v[16:17], v[102:103], v[112:113] op_sel:[0,0,1] op_sel_hi:[1,0,0] neg_lo:[1,0,0] neg_hi:[1,0,0]
	v_pk_add_f32 v[2:3], v[22:23], v[2:3] neg_lo:[0,1] neg_hi:[0,1]
	v_mov_b32_e32 v1, v17
	v_pk_add_f32 v[10:11], v[18:19], v[10:11] neg_lo:[0,1] neg_hi:[0,1]
	v_pk_add_f32 v[12:13], v[26:27], v[12:13] neg_lo:[0,1] neg_hi:[0,1]
	;; [unrolled: 1-line block ×5, first 2 shown]
	v_pk_fma_f32 v[16:17], v[22:23], 2.0, v[2:3] op_sel_hi:[1,0,1] neg_lo:[0,0,1] neg_hi:[0,0,1]
	v_pk_fma_f32 v[22:23], v[118:119], 2.0, v[6:7] op_sel_hi:[1,0,1] neg_lo:[0,0,1] neg_hi:[0,0,1]
	;; [unrolled: 1-line block ×8, first 2 shown]
	v_pk_add_f32 v[22:23], v[16:17], v[22:23] neg_lo:[0,1] neg_hi:[0,1]
	v_pk_add_f32 v[18:19], v[28:29], v[18:19] neg_lo:[0,1] neg_hi:[0,1]
	;; [unrolled: 1-line block ×4, first 2 shown]
	v_pk_fma_f32 v[28:29], v[28:29], 2.0, v[18:19] op_sel_hi:[1,0,1] neg_lo:[0,0,1] neg_hi:[0,0,1]
	v_pk_fma_f32 v[16:17], v[16:17], 2.0, v[22:23] op_sel_hi:[1,0,1] neg_lo:[0,0,1] neg_hi:[0,0,1]
	;; [unrolled: 1-line block ×4, first 2 shown]
	v_pk_add_f32 v[16:17], v[28:29], v[16:17] neg_lo:[0,1] neg_hi:[0,1]
	v_pk_add_f32 v[30:31], v[20:21], v[30:31] neg_lo:[0,1] neg_hi:[0,1]
	v_pk_fma_f32 v[28:29], v[28:29], 2.0, v[16:17] op_sel_hi:[1,0,1] neg_lo:[0,0,1] neg_hi:[0,0,1]
	v_pk_fma_f32 v[20:21], v[20:21], 2.0, v[30:31] op_sel_hi:[1,0,1] neg_lo:[0,0,1] neg_hi:[0,0,1]
	s_mov_b32 s2, 0x3f3504f3
	v_pk_add_f32 v[20:21], v[28:29], v[20:21] neg_lo:[0,1] neg_hi:[0,1]
	s_mov_b32 s10, 0x3ec3ef15
	v_pk_fma_f32 v[28:29], v[28:29], 2.0, v[20:21] op_sel_hi:[1,0,1] neg_lo:[0,0,1] neg_hi:[0,0,1]
	ds_write_b64 v123, v[28:29]
	v_pk_add_f32 v[28:29], v[2:3], v[6:7] op_sel:[0,1] op_sel_hi:[1,0]
	v_pk_add_f32 v[6:7], v[2:3], v[6:7] op_sel:[0,1] op_sel_hi:[1,0] neg_lo:[0,1] neg_hi:[0,1]
	s_mov_b32 s12, 0x3f6c835e
	v_mov_b32_e32 v29, v7
	v_pk_add_f32 v[6:7], v[14:15], v[10:11] op_sel:[0,1] op_sel_hi:[1,0]
	v_pk_add_f32 v[10:11], v[14:15], v[10:11] op_sel:[0,1] op_sel_hi:[1,0] neg_lo:[0,1] neg_hi:[0,1]
	v_pk_fma_f32 v[2:3], v[2:3], 2.0, v[28:29] op_sel_hi:[1,0,1] neg_lo:[0,0,1] neg_hi:[0,0,1]
	v_mov_b32_e32 v7, v11
	v_pk_add_f32 v[10:11], v[8:9], v[12:13] op_sel:[0,1] op_sel_hi:[1,0]
	v_pk_add_f32 v[12:13], v[8:9], v[12:13] op_sel:[0,1] op_sel_hi:[1,0] neg_lo:[0,1] neg_hi:[0,1]
	v_pk_fma_f32 v[14:15], v[14:15], 2.0, v[6:7] op_sel_hi:[1,0,1] neg_lo:[0,0,1] neg_hi:[0,0,1]
	v_mov_b32_e32 v11, v13
	v_pk_add_f32 v[12:13], v[0:1], v[4:5] op_sel:[0,1] op_sel_hi:[1,0]
	v_pk_add_f32 v[4:5], v[0:1], v[4:5] op_sel:[0,1] op_sel_hi:[1,0] neg_lo:[0,1] neg_hi:[0,1]
	s_nop 0
	v_mov_b32_e32 v13, v5
	v_pk_mul_f32 v[4:5], v[2:3], s[2:3] op_sel_hi:[1,0]
	v_pk_fma_f32 v[2:3], v[2:3], s[2:3], v[14:15] op_sel_hi:[1,0,1] neg_lo:[1,0,0] neg_hi:[1,0,0]
	v_pk_fma_f32 v[0:1], v[0:1], 2.0, v[12:13] op_sel_hi:[1,0,1] neg_lo:[0,0,1] neg_hi:[0,0,1]
	v_pk_add_f32 v[32:33], v[2:3], v[4:5] op_sel:[0,1] op_sel_hi:[1,0]
	v_pk_add_f32 v[2:3], v[2:3], v[4:5] op_sel:[0,1] op_sel_hi:[1,0] neg_lo:[0,1] neg_hi:[0,1]
	v_pk_fma_f32 v[4:5], v[8:9], 2.0, v[10:11] op_sel_hi:[1,0,1] neg_lo:[0,0,1] neg_hi:[0,0,1]
	v_mov_b32_e32 v33, v3
	v_pk_mul_f32 v[8:9], v[4:5], s[2:3] op_sel_hi:[1,0]
	v_pk_fma_f32 v[4:5], v[4:5], s[2:3], v[0:1] op_sel_hi:[1,0,1] neg_lo:[1,0,0] neg_hi:[1,0,0]
	s_nop 0
	v_pk_add_f32 v[34:35], v[4:5], v[8:9] op_sel:[0,1] op_sel_hi:[1,0]
	v_pk_add_f32 v[4:5], v[4:5], v[8:9] op_sel:[0,1] op_sel_hi:[1,0] neg_lo:[0,1] neg_hi:[0,1]
	v_fmamk_f32 v8, v34, 0x3ec3ef15, v32
	v_mov_b32_e32 v35, v5
	v_fmamk_f32 v2, v5, 0x3ec3ef15, v3
	v_fmac_f32_e32 v8, 0x3f6c835e, v5
	v_pk_fma_f32 v[0:1], v[0:1], 2.0, v[34:35] op_sel_hi:[1,0,1] neg_lo:[0,0,1] neg_hi:[0,0,1]
	v_pk_fma_f32 v[4:5], v[14:15], 2.0, v[32:33] op_sel_hi:[1,0,1] neg_lo:[0,0,1] neg_hi:[0,0,1]
	v_pk_mul_f32 v[14:15], v[0:1], s[10:11] op_sel_hi:[1,0]
	v_pk_fma_f32 v[0:1], v[0:1], s[12:13], v[4:5] op_sel_hi:[1,0,1] neg_lo:[1,0,0] neg_hi:[1,0,0]
	v_fmamk_f32 v9, v34, 0xbf6c835e, v2
	v_fma_f32 v2, v32, 2.0, -v8
	v_pk_add_f32 v[32:33], v[0:1], v[14:15] op_sel:[0,1] op_sel_hi:[1,0]
	v_pk_add_f32 v[0:1], v[0:1], v[14:15] op_sel:[0,1] op_sel_hi:[1,0] neg_lo:[0,1] neg_hi:[0,1]
	v_pk_add_f32 v[14:15], v[18:19], v[22:23] op_sel:[0,1] op_sel_hi:[1,0] neg_lo:[0,1] neg_hi:[0,1]
	v_mov_b32_e32 v33, v1
	v_pk_fma_f32 v[0:1], v[4:5], 2.0, v[32:33] op_sel_hi:[1,0,1] neg_lo:[0,0,1] neg_hi:[0,0,1]
	v_pk_add_f32 v[4:5], v[18:19], v[22:23] op_sel:[0,1] op_sel_hi:[1,0]
	v_pk_add_f32 v[22:23], v[24:25], v[26:27] op_sel:[0,1] op_sel_hi:[1,0] neg_lo:[0,1] neg_hi:[0,1]
	v_mov_b32_e32 v5, v15
	v_pk_add_f32 v[14:15], v[24:25], v[26:27] op_sel:[0,1] op_sel_hi:[1,0]
	v_pk_fma_f32 v[18:19], v[18:19], 2.0, v[4:5] op_sel_hi:[1,0,1] neg_lo:[0,0,1] neg_hi:[0,0,1]
	v_mov_b32_e32 v15, v23
	v_pk_fma_f32 v[22:23], v[24:25], 2.0, v[14:15] op_sel_hi:[1,0,1] neg_lo:[0,0,1] neg_hi:[0,0,1]
	v_fma_f32 v3, v3, 2.0, -v9
	v_pk_mul_f32 v[24:25], v[22:23], s[2:3] op_sel_hi:[1,0]
	v_pk_fma_f32 v[22:23], v[22:23], s[2:3], v[18:19] op_sel_hi:[1,0,1] neg_lo:[1,0,0] neg_hi:[1,0,0]
	s_nop 0
	v_pk_add_f32 v[26:27], v[22:23], v[24:25] op_sel:[0,1] op_sel_hi:[1,0]
	v_pk_add_f32 v[22:23], v[22:23], v[24:25] op_sel:[0,1] op_sel_hi:[1,0] neg_lo:[0,1] neg_hi:[0,1]
	s_nop 0
	v_mov_b32_e32 v27, v23
	v_pk_fma_f32 v[18:19], v[18:19], 2.0, v[26:27] op_sel_hi:[1,0,1] neg_lo:[0,0,1] neg_hi:[0,0,1]
	ds_write2_b64 v67, v[0:1], v[18:19] offset0:13 offset1:26
	v_pk_mul_f32 v[0:1], v[28:29], s[2:3] op_sel_hi:[1,0]
	v_pk_fma_f32 v[18:19], v[28:29], s[2:3], v[6:7] op_sel_hi:[1,0,1]
	s_nop 0
	v_pk_add_f32 v[22:23], v[18:19], v[0:1] op_sel:[0,1] op_sel_hi:[1,0]
	v_pk_add_f32 v[0:1], v[18:19], v[0:1] op_sel:[0,1] op_sel_hi:[1,0] neg_lo:[0,1] neg_hi:[0,1]
	v_pk_mul_f32 v[18:19], v[10:11], s[2:3] op_sel_hi:[1,0]
	v_pk_fma_f32 v[10:11], v[10:11], s[2:3], v[12:13] op_sel_hi:[1,0,1]
	v_mov_b32_e32 v23, v1
	v_pk_add_f32 v[24:25], v[10:11], v[18:19] op_sel:[0,1] op_sel_hi:[1,0]
	v_pk_add_f32 v[10:11], v[10:11], v[18:19] op_sel:[0,1] op_sel_hi:[1,0] neg_lo:[0,1] neg_hi:[0,1]
	v_fmamk_f32 v18, v24, 0x3f6c835e, v22
	v_mov_b32_e32 v25, v11
	v_fmamk_f32 v0, v11, 0x3f6c835e, v1
	v_fmac_f32_e32 v18, 0x3ec3ef15, v11
	v_pk_fma_f32 v[10:11], v[12:13], 2.0, v[24:25] op_sel_hi:[1,0,1] neg_lo:[0,0,1] neg_hi:[0,0,1]
	v_pk_fma_f32 v[6:7], v[6:7], 2.0, v[22:23] op_sel_hi:[1,0,1] neg_lo:[0,0,1] neg_hi:[0,0,1]
	v_pk_mul_f32 v[12:13], v[10:11], s[12:13] op_sel_hi:[1,0]
	v_pk_fma_f32 v[10:11], v[10:11], s[10:11], v[6:7] op_sel_hi:[1,0,1] neg_lo:[1,0,0] neg_hi:[1,0,0]
	v_fmamk_f32 v19, v24, 0xbec3ef15, v0
	v_fma_f32 v0, v22, 2.0, -v18
	v_pk_add_f32 v[22:23], v[10:11], v[12:13] op_sel:[0,1] op_sel_hi:[1,0]
	v_pk_add_f32 v[10:11], v[10:11], v[12:13] op_sel:[0,1] op_sel_hi:[1,0] neg_lo:[0,1] neg_hi:[0,1]
	v_pk_add_f32 v[12:13], v[16:17], v[30:31] op_sel:[0,1] op_sel_hi:[1,0] neg_lo:[0,1] neg_hi:[0,1]
	v_mov_b32_e32 v23, v11
	v_pk_add_f32 v[10:11], v[16:17], v[30:31] op_sel:[0,1] op_sel_hi:[1,0]
	v_pk_fma_f32 v[6:7], v[6:7], 2.0, v[22:23] op_sel_hi:[1,0,1] neg_lo:[0,0,1] neg_hi:[0,0,1]
	v_mov_b32_e32 v11, v13
	v_pk_fma_f32 v[12:13], v[16:17], 2.0, v[10:11] op_sel_hi:[1,0,1] neg_lo:[0,0,1] neg_hi:[0,0,1]
	ds_write2_b64 v67, v[6:7], v[12:13] offset0:39 offset1:52
	v_pk_mul_f32 v[6:7], v[14:15], s[2:3] op_sel_hi:[1,0]
	v_pk_fma_f32 v[12:13], v[14:15], s[2:3], v[4:5] op_sel_hi:[1,0,1]
	v_fma_f32 v1, v1, 2.0, -v19
	v_pk_add_f32 v[14:15], v[12:13], v[6:7] op_sel:[0,1] op_sel_hi:[1,0]
	v_pk_add_f32 v[6:7], v[12:13], v[6:7] op_sel:[0,1] op_sel_hi:[1,0] neg_lo:[0,1] neg_hi:[0,1]
	s_nop 0
	v_mov_b32_e32 v15, v7
	v_pk_fma_f32 v[4:5], v[4:5], 2.0, v[14:15] op_sel_hi:[1,0,1] neg_lo:[0,0,1] neg_hi:[0,0,1]
	ds_write2_b64 v67, v[2:3], v[4:5] offset0:65 offset1:78
	ds_write2_b64 v67, v[0:1], v[20:21] offset0:91 offset1:104
	;; [unrolled: 1-line block ×5, first 2 shown]
	ds_write_b64 v67, v[18:19] offset:1560
.LBB0_9:
	s_or_b64 exec, exec, s[0:1]
	s_waitcnt lgkmcnt(0)
	; wave barrier
	s_waitcnt lgkmcnt(0)
	ds_read_b64 v[0:1], v123
	v_mad_u64_u32 v[6:7], s[0:1], s6, v66, 0
	v_mov_b32_e32 v2, v7
	v_mad_u64_u32 v[2:3], s[0:1], s7, v66, v[2:3]
	v_mov_b32_e32 v7, v2
	s_waitcnt lgkmcnt(0)
	v_mul_f32_e32 v2, v75, v1
	v_fmac_f32_e32 v2, v74, v0
	v_mul_f32_e32 v0, v75, v0
	s_mov_b32 s0, 0x13b13b14
	v_fma_f32 v0, v74, v1, -v0
	s_mov_b32 s1, 0x3f73b13b
	v_cvt_f64_f32_e32 v[0:1], v0
	v_cvt_f64_f32_e32 v[2:3], v2
	v_mul_f64 v[0:1], v[0:1], s[0:1]
	v_mad_u64_u32 v[10:11], s[2:3], s4, v122, 0
	v_mul_f64 v[2:3], v[2:3], s[0:1]
	v_cvt_f32_f64_e32 v9, v[0:1]
	v_mov_b32_e32 v0, v11
	v_cvt_f32_f64_e32 v8, v[2:3]
	v_mad_u64_u32 v[12:13], s[2:3], s5, v122, v[0:1]
	ds_read2_b64 v[0:3], v67 offset0:16 offset1:32
	v_mov_b32_e32 v4, s8
	v_mov_b32_e32 v5, s9
	v_lshl_add_u64 v[4:5], v[6:7], 3, v[4:5]
	v_mov_b32_e32 v11, v12
	s_waitcnt lgkmcnt(0)
	v_mul_f32_e32 v6, v73, v1
	v_fmac_f32_e32 v6, v72, v0
	v_mul_f32_e32 v0, v73, v0
	v_fma_f32 v0, v72, v1, -v0
	v_cvt_f64_f32_e32 v[6:7], v6
	v_cvt_f64_f32_e32 v[0:1], v0
	v_mul_f64 v[6:7], v[6:7], s[0:1]
	v_mul_f64 v[0:1], v[0:1], s[0:1]
	v_cvt_f32_f64_e32 v6, v[6:7]
	v_cvt_f32_f64_e32 v7, v[0:1]
	v_mul_f32_e32 v0, v71, v3
	v_fmac_f32_e32 v0, v70, v2
	v_lshl_add_u64 v[4:5], v[10:11], 3, v[4:5]
	s_lshl_b64 s[2:3], s[4:5], 7
	v_cvt_f64_f32_e32 v[0:1], v0
	global_store_dwordx2 v[4:5], v[8:9], off
	v_lshl_add_u64 v[4:5], v[4:5], 0, s[2:3]
	v_mul_f64 v[0:1], v[0:1], s[0:1]
	global_store_dwordx2 v[4:5], v[6:7], off
	v_cvt_f32_f64_e32 v6, v[0:1]
	v_mul_f32_e32 v0, v71, v2
	v_fma_f32 v0, v70, v3, -v0
	v_cvt_f64_f32_e32 v[8:9], v0
	ds_read2_b64 v[0:3], v67 offset0:48 offset1:64
	v_mul_f64 v[8:9], v[8:9], s[0:1]
	v_cvt_f32_f64_e32 v7, v[8:9]
	v_lshl_add_u64 v[4:5], v[4:5], 0, s[2:3]
	global_store_dwordx2 v[4:5], v[6:7], off
	s_waitcnt lgkmcnt(0)
	v_mul_f32_e32 v6, v69, v1
	v_fmac_f32_e32 v6, v68, v0
	v_mul_f32_e32 v0, v69, v0
	v_fma_f32 v0, v68, v1, -v0
	v_cvt_f64_f32_e32 v[6:7], v6
	v_cvt_f64_f32_e32 v[0:1], v0
	v_mul_f64 v[6:7], v[6:7], s[0:1]
	v_mul_f64 v[0:1], v[0:1], s[0:1]
	v_cvt_f32_f64_e32 v6, v[6:7]
	v_cvt_f32_f64_e32 v7, v[0:1]
	v_mul_f32_e32 v0, v65, v3
	v_fmac_f32_e32 v0, v64, v2
	v_cvt_f64_f32_e32 v[0:1], v0
	v_lshl_add_u64 v[4:5], v[4:5], 0, s[2:3]
	v_mul_f64 v[0:1], v[0:1], s[0:1]
	global_store_dwordx2 v[4:5], v[6:7], off
	v_cvt_f32_f64_e32 v6, v[0:1]
	v_mul_f32_e32 v0, v65, v2
	v_fma_f32 v0, v64, v3, -v0
	v_cvt_f64_f32_e32 v[8:9], v0
	ds_read2_b64 v[0:3], v67 offset0:80 offset1:96
	v_mul_f64 v[8:9], v[8:9], s[0:1]
	v_cvt_f32_f64_e32 v7, v[8:9]
	v_lshl_add_u64 v[4:5], v[4:5], 0, s[2:3]
	global_store_dwordx2 v[4:5], v[6:7], off
	s_waitcnt lgkmcnt(0)
	v_mul_f32_e32 v6, v63, v1
	v_fmac_f32_e32 v6, v62, v0
	v_mul_f32_e32 v0, v63, v0
	v_fma_f32 v0, v62, v1, -v0
	v_cvt_f64_f32_e32 v[6:7], v6
	v_cvt_f64_f32_e32 v[0:1], v0
	v_mul_f64 v[6:7], v[6:7], s[0:1]
	v_mul_f64 v[0:1], v[0:1], s[0:1]
	v_cvt_f32_f64_e32 v6, v[6:7]
	v_cvt_f32_f64_e32 v7, v[0:1]
	v_mul_f32_e32 v0, v61, v3
	v_fmac_f32_e32 v0, v60, v2
	v_cvt_f64_f32_e32 v[0:1], v0
	;; [unrolled: 26-line block ×4, first 2 shown]
	v_lshl_add_u64 v[4:5], v[4:5], 0, s[2:3]
	v_mul_f64 v[0:1], v[0:1], s[0:1]
	global_store_dwordx2 v[4:5], v[6:7], off
	v_cvt_f32_f64_e32 v6, v[0:1]
	v_mul_f32_e32 v0, v53, v2
	v_fma_f32 v0, v52, v3, -v0
	v_cvt_f64_f32_e32 v[8:9], v0
	ds_read2_b64 v[0:3], v67 offset0:176 offset1:192
	v_mul_f64 v[8:9], v[8:9], s[0:1]
	v_cvt_f32_f64_e32 v7, v[8:9]
	v_lshl_add_u64 v[4:5], v[4:5], 0, s[2:3]
	global_store_dwordx2 v[4:5], v[6:7], off
	s_waitcnt lgkmcnt(0)
	v_mul_f32_e32 v6, v51, v1
	v_fmac_f32_e32 v6, v50, v0
	v_mul_f32_e32 v0, v51, v0
	v_fma_f32 v0, v50, v1, -v0
	v_cvt_f64_f32_e32 v[6:7], v6
	v_cvt_f64_f32_e32 v[0:1], v0
	v_mul_f64 v[6:7], v[6:7], s[0:1]
	v_mul_f64 v[0:1], v[0:1], s[0:1]
	v_cvt_f32_f64_e32 v6, v[6:7]
	v_cvt_f32_f64_e32 v7, v[0:1]
	v_lshl_add_u64 v[0:1], v[4:5], 0, s[2:3]
	v_mul_f32_e32 v4, v49, v3
	v_fmac_f32_e32 v4, v48, v2
	v_mul_f32_e32 v2, v49, v2
	v_fma_f32 v2, v48, v3, -v2
	v_cvt_f64_f32_e32 v[4:5], v4
	v_cvt_f64_f32_e32 v[2:3], v2
	v_mul_f64 v[4:5], v[4:5], s[0:1]
	v_mul_f64 v[2:3], v[2:3], s[0:1]
	global_store_dwordx2 v[0:1], v[6:7], off
	v_cvt_f32_f64_e32 v4, v[4:5]
	v_cvt_f32_f64_e32 v5, v[2:3]
	v_lshl_add_u64 v[0:1], v[0:1], 0, s[2:3]
	global_store_dwordx2 v[0:1], v[4:5], off
.LBB0_10:
	s_endpgm
	.section	.rodata,"a",@progbits
	.p2align	6, 0x0
	.amdhsa_kernel bluestein_single_back_len208_dim1_sp_op_CI_CI
		.amdhsa_group_segment_fixed_size 6656
		.amdhsa_private_segment_fixed_size 0
		.amdhsa_kernarg_size 104
		.amdhsa_user_sgpr_count 2
		.amdhsa_user_sgpr_dispatch_ptr 0
		.amdhsa_user_sgpr_queue_ptr 0
		.amdhsa_user_sgpr_kernarg_segment_ptr 1
		.amdhsa_user_sgpr_dispatch_id 0
		.amdhsa_user_sgpr_kernarg_preload_length 0
		.amdhsa_user_sgpr_kernarg_preload_offset 0
		.amdhsa_user_sgpr_private_segment_size 0
		.amdhsa_uses_dynamic_stack 0
		.amdhsa_enable_private_segment 0
		.amdhsa_system_sgpr_workgroup_id_x 1
		.amdhsa_system_sgpr_workgroup_id_y 0
		.amdhsa_system_sgpr_workgroup_id_z 0
		.amdhsa_system_sgpr_workgroup_info 0
		.amdhsa_system_vgpr_workitem_id 0
		.amdhsa_next_free_vgpr 156
		.amdhsa_next_free_sgpr 46
		.amdhsa_accum_offset 156
		.amdhsa_reserve_vcc 1
		.amdhsa_float_round_mode_32 0
		.amdhsa_float_round_mode_16_64 0
		.amdhsa_float_denorm_mode_32 3
		.amdhsa_float_denorm_mode_16_64 3
		.amdhsa_dx10_clamp 1
		.amdhsa_ieee_mode 1
		.amdhsa_fp16_overflow 0
		.amdhsa_tg_split 0
		.amdhsa_exception_fp_ieee_invalid_op 0
		.amdhsa_exception_fp_denorm_src 0
		.amdhsa_exception_fp_ieee_div_zero 0
		.amdhsa_exception_fp_ieee_overflow 0
		.amdhsa_exception_fp_ieee_underflow 0
		.amdhsa_exception_fp_ieee_inexact 0
		.amdhsa_exception_int_div_zero 0
	.end_amdhsa_kernel
	.text
.Lfunc_end0:
	.size	bluestein_single_back_len208_dim1_sp_op_CI_CI, .Lfunc_end0-bluestein_single_back_len208_dim1_sp_op_CI_CI
                                        ; -- End function
	.section	.AMDGPU.csdata,"",@progbits
; Kernel info:
; codeLenInByte = 12096
; NumSgprs: 52
; NumVgprs: 156
; NumAgprs: 0
; TotalNumVgprs: 156
; ScratchSize: 0
; MemoryBound: 0
; FloatMode: 240
; IeeeMode: 1
; LDSByteSize: 6656 bytes/workgroup (compile time only)
; SGPRBlocks: 6
; VGPRBlocks: 19
; NumSGPRsForWavesPerEU: 52
; NumVGPRsForWavesPerEU: 156
; AccumOffset: 156
; Occupancy: 3
; WaveLimiterHint : 1
; COMPUTE_PGM_RSRC2:SCRATCH_EN: 0
; COMPUTE_PGM_RSRC2:USER_SGPR: 2
; COMPUTE_PGM_RSRC2:TRAP_HANDLER: 0
; COMPUTE_PGM_RSRC2:TGID_X_EN: 1
; COMPUTE_PGM_RSRC2:TGID_Y_EN: 0
; COMPUTE_PGM_RSRC2:TGID_Z_EN: 0
; COMPUTE_PGM_RSRC2:TIDIG_COMP_CNT: 0
; COMPUTE_PGM_RSRC3_GFX90A:ACCUM_OFFSET: 38
; COMPUTE_PGM_RSRC3_GFX90A:TG_SPLIT: 0
	.text
	.p2alignl 6, 3212836864
	.fill 256, 4, 3212836864
	.type	__hip_cuid_16426f4dd3cfcc51,@object ; @__hip_cuid_16426f4dd3cfcc51
	.section	.bss,"aw",@nobits
	.globl	__hip_cuid_16426f4dd3cfcc51
__hip_cuid_16426f4dd3cfcc51:
	.byte	0                               ; 0x0
	.size	__hip_cuid_16426f4dd3cfcc51, 1

	.ident	"AMD clang version 19.0.0git (https://github.com/RadeonOpenCompute/llvm-project roc-6.4.0 25133 c7fe45cf4b819c5991fe208aaa96edf142730f1d)"
	.section	".note.GNU-stack","",@progbits
	.addrsig
	.addrsig_sym __hip_cuid_16426f4dd3cfcc51
	.amdgpu_metadata
---
amdhsa.kernels:
  - .agpr_count:     0
    .args:
      - .actual_access:  read_only
        .address_space:  global
        .offset:         0
        .size:           8
        .value_kind:     global_buffer
      - .actual_access:  read_only
        .address_space:  global
        .offset:         8
        .size:           8
        .value_kind:     global_buffer
      - .actual_access:  read_only
        .address_space:  global
        .offset:         16
        .size:           8
        .value_kind:     global_buffer
      - .actual_access:  read_only
        .address_space:  global
        .offset:         24
        .size:           8
        .value_kind:     global_buffer
      - .actual_access:  read_only
        .address_space:  global
        .offset:         32
        .size:           8
        .value_kind:     global_buffer
      - .offset:         40
        .size:           8
        .value_kind:     by_value
      - .address_space:  global
        .offset:         48
        .size:           8
        .value_kind:     global_buffer
      - .address_space:  global
        .offset:         56
        .size:           8
        .value_kind:     global_buffer
      - .address_space:  global
        .offset:         64
        .size:           8
        .value_kind:     global_buffer
      - .address_space:  global
        .offset:         72
        .size:           8
        .value_kind:     global_buffer
      - .offset:         80
        .size:           4
        .value_kind:     by_value
      - .address_space:  global
        .offset:         88
        .size:           8
        .value_kind:     global_buffer
      - .address_space:  global
        .offset:         96
        .size:           8
        .value_kind:     global_buffer
    .group_segment_fixed_size: 6656
    .kernarg_segment_align: 8
    .kernarg_segment_size: 104
    .language:       OpenCL C
    .language_version:
      - 2
      - 0
    .max_flat_workgroup_size: 64
    .name:           bluestein_single_back_len208_dim1_sp_op_CI_CI
    .private_segment_fixed_size: 0
    .sgpr_count:     52
    .sgpr_spill_count: 0
    .symbol:         bluestein_single_back_len208_dim1_sp_op_CI_CI.kd
    .uniform_work_group_size: 1
    .uses_dynamic_stack: false
    .vgpr_count:     156
    .vgpr_spill_count: 0
    .wavefront_size: 64
amdhsa.target:   amdgcn-amd-amdhsa--gfx950
amdhsa.version:
  - 1
  - 2
...

	.end_amdgpu_metadata
